;; amdgpu-corpus repo=ROCm/rocFFT kind=compiled arch=gfx1100 opt=O3
	.text
	.amdgcn_target "amdgcn-amd-amdhsa--gfx1100"
	.amdhsa_code_object_version 6
	.protected	bluestein_single_fwd_len1680_dim1_dp_op_CI_CI ; -- Begin function bluestein_single_fwd_len1680_dim1_dp_op_CI_CI
	.globl	bluestein_single_fwd_len1680_dim1_dp_op_CI_CI
	.p2align	8
	.type	bluestein_single_fwd_len1680_dim1_dp_op_CI_CI,@function
bluestein_single_fwd_len1680_dim1_dp_op_CI_CI: ; @bluestein_single_fwd_len1680_dim1_dp_op_CI_CI
; %bb.0:
	s_load_b128 s[8:11], s[0:1], 0x28
	v_mul_u32_u24_e32 v1, 0x24a, v0
	s_mov_b32 s2, exec_lo
	v_mov_b32_e32 v12, 0
	s_delay_alu instid0(VALU_DEP_2) | instskip(NEXT) | instid1(VALU_DEP_1)
	v_lshrrev_b32_e32 v1, 16, v1
	v_add_nc_u32_e32 v11, s15, v1
	s_waitcnt lgkmcnt(0)
	s_delay_alu instid0(VALU_DEP_1)
	v_cmpx_gt_u64_e64 s[8:9], v[11:12]
	s_cbranch_execz .LBB0_47
; %bb.1:
	s_clause 0x1
	s_load_b128 s[4:7], s[0:1], 0x18
	s_load_b64 s[2:3], s[0:1], 0x0
	v_mul_lo_u16 v1, 0x70, v1
	s_delay_alu instid0(VALU_DEP_1) | instskip(NEXT) | instid1(VALU_DEP_1)
	v_sub_nc_u16 v2, v0, v1
	v_and_b32_e32 v25, 0xffff, v2
	s_delay_alu instid0(VALU_DEP_1)
	v_lshlrev_b32_e32 v24, 4, v25
	s_waitcnt lgkmcnt(0)
	s_load_b128 s[12:15], s[4:5], 0x0
	s_clause 0x2
	global_load_b128 v[44:47], v24, s[2:3]
	global_load_b128 v[48:51], v24, s[2:3] offset:1792
	global_load_b128 v[52:55], v24, s[2:3] offset:3584
	v_add_co_u32 v27, s4, s2, v24
	s_delay_alu instid0(VALU_DEP_1) | instskip(NEXT) | instid1(VALU_DEP_2)
	v_add_co_ci_u32_e64 v248, null, s3, 0, s4
	v_add_co_u32 v9, vcc_lo, 0x3000, v27
	s_delay_alu instid0(VALU_DEP_2)
	v_add_co_ci_u32_e32 v10, vcc_lo, 0, v248, vcc_lo
	v_add_co_u32 v0, vcc_lo, 0x4000, v27
	v_add_co_ci_u32_e32 v1, vcc_lo, 0, v248, vcc_lo
	s_clause 0x1
	global_load_b128 v[152:155], v[9:10], off offset:1152
	global_load_b128 v[148:151], v[9:10], off offset:2944
	scratch_store_b64 off, v[9:10], off offset:16 ; 8-byte Folded Spill
	v_mov_b32_e32 v9, v11
	s_waitcnt lgkmcnt(0)
	v_mad_u64_u32 v[5:6], null, s14, v11, 0
	v_mad_u64_u32 v[7:8], null, s12, v25, 0
	scratch_store_b64 off, v[9:10], off offset:56 ; 8-byte Folded Spill
	s_clause 0x1
	global_load_b128 v[140:143], v[0:1], off offset:640
	global_load_b128 v[132:135], v[0:1], off offset:2432
	v_add_co_u32 v3, vcc_lo, 0x1000, v27
	v_add_co_ci_u32_e32 v4, vcc_lo, 0, v248, vcc_lo
	v_mad_u64_u32 v[9:10], null, s15, v11, v[6:7]
	v_add_co_u32 v32, vcc_lo, 0x5000, v27
	v_add_co_ci_u32_e32 v33, vcc_lo, 0, v248, vcc_lo
	v_add_co_u32 v34, vcc_lo, 0x2000, v27
	s_delay_alu instid0(VALU_DEP_4)
	v_mov_b32_e32 v6, v9
	v_mad_u64_u32 v[0:1], null, s13, v25, v[8:9]
	v_add_co_ci_u32_e32 v35, vcc_lo, 0, v248, vcc_lo
	s_clause 0x1
	global_load_b128 v[144:147], v[3:4], off offset:1280
	global_load_b128 v[136:139], v[3:4], off offset:3072
	s_mul_i32 s3, s13, 0x348
	s_mul_hi_u32 s5, s12, 0x348
	s_mul_i32 s2, s12, 0x348
	v_mov_b32_e32 v8, v0
	v_lshlrev_b64 v[0:1], 4, v[5:6]
	s_add_i32 s3, s5, s3
	s_mul_hi_u32 s9, s12, 0xfffffd28
	s_mul_i32 s8, s13, 0xfffffd28
	v_lshlrev_b64 v[3:4], 4, v[7:8]
	s_sub_i32 s5, s9, s12
	v_add_co_u32 v0, vcc_lo, s10, v0
	v_add_co_ci_u32_e32 v1, vcc_lo, s11, v1, vcc_lo
	s_lshl_b64 s[10:11], s[2:3], 4
	s_delay_alu instid0(VALU_DEP_2) | instskip(NEXT) | instid1(VALU_DEP_2)
	v_add_co_u32 v0, vcc_lo, v0, v3
	v_add_co_ci_u32_e32 v1, vcc_lo, v1, v4, vcc_lo
	s_mul_i32 s4, s12, 0xfffffd28
	s_delay_alu instid0(VALU_DEP_2) | instskip(SKIP_1) | instid1(VALU_DEP_2)
	v_add_co_u32 v7, vcc_lo, v0, s10
	s_add_i32 s5, s5, s8
	v_add_co_ci_u32_e32 v8, vcc_lo, s11, v1, vcc_lo
	s_lshl_b64 s[2:3], s[4:5], 4
	global_load_b128 v[156:159], v[34:35], off offset:768
	v_add_co_u32 v11, vcc_lo, v7, s2
	v_add_co_ci_u32_e32 v12, vcc_lo, s3, v8, vcc_lo
	s_clause 0x1
	global_load_b128 v[160:163], v[32:33], off offset:128
	global_load_b128 v[164:167], v[32:33], off offset:1920
	v_add_co_u32 v15, vcc_lo, v11, s10
	v_add_co_ci_u32_e32 v16, vcc_lo, s11, v12, vcc_lo
	s_clause 0x1
	global_load_b128 v[3:6], v[0:1], off
	global_load_b128 v[7:10], v[7:8], off
	v_add_co_u32 v19, vcc_lo, v15, s2
	v_add_co_ci_u32_e32 v20, vcc_lo, s3, v16, vcc_lo
	s_clause 0x1
	global_load_b128 v[11:14], v[11:12], off
	global_load_b128 v[15:18], v[15:16], off
	v_add_co_u32 v0, vcc_lo, v19, s10
	v_add_co_ci_u32_e32 v1, vcc_lo, s11, v20, vcc_lo
	global_load_b128 v[19:22], v[19:20], off
	v_add_co_u32 v36, vcc_lo, v0, s2
	v_add_co_ci_u32_e32 v37, vcc_lo, s3, v1, vcc_lo
	;; [unrolled: 3-line block ×8, first 2 shown]
	s_delay_alu instid0(VALU_DEP_2) | instskip(NEXT) | instid1(VALU_DEP_2)
	v_add_co_u32 v0, vcc_lo, v36, s10
	v_add_co_ci_u32_e32 v1, vcc_lo, s11, v37, vcc_lo
	global_load_b128 v[76:79], v[40:41], off
	global_load_b128 v[168:171], v[34:35], off offset:2560
	global_load_b128 v[80:83], v[36:37], off
	global_load_b128 v[172:175], v[32:33], off offset:3712
	global_load_b128 v[84:87], v[0:1], off
	v_cmp_gt_u16_e32 vcc_lo, 56, v2
	s_waitcnt vmcnt(27)
	scratch_store_b128 off, v[44:47], off   ; 16-byte Folded Spill
	s_waitcnt vmcnt(26)
	scratch_store_b128 off, v[48:51], off offset:24 ; 16-byte Folded Spill
	s_waitcnt vmcnt(25)
	scratch_store_b128 off, v[52:55], off offset:40 ; 16-byte Folded Spill
	;; [unrolled: 2-line block ×11, first 2 shown]
	s_waitcnt vmcnt(15)
	v_mul_f64 v[32:33], v[5:6], v[46:47]
	v_mul_f64 v[34:35], v[3:4], v[46:47]
	s_waitcnt vmcnt(14)
	v_mul_f64 v[36:37], v[9:10], v[154:155]
	v_mul_f64 v[38:39], v[7:8], v[154:155]
	;; [unrolled: 3-line block ×10, first 2 shown]
	v_fma_f64 v[3:4], v[3:4], v[44:45], v[32:33]
	v_fma_f64 v[5:6], v[5:6], v[44:45], -v[34:35]
	v_fma_f64 v[7:8], v[7:8], v[152:153], v[36:37]
	s_waitcnt vmcnt(5)
	v_mul_f64 v[116:117], v[74:75], v[158:159]
	v_mul_f64 v[118:119], v[72:73], v[158:159]
	v_fma_f64 v[9:10], v[9:10], v[152:153], -v[38:39]
	v_fma_f64 v[11:12], v[11:12], v[48:49], v[40:41]
	v_fma_f64 v[13:14], v[13:14], v[48:49], -v[42:43]
	v_fma_f64 v[15:16], v[15:16], v[148:149], v[88:89]
	s_waitcnt vmcnt(4)
	v_mul_f64 v[120:121], v[78:79], v[166:167]
	v_mul_f64 v[122:123], v[76:77], v[166:167]
	s_waitcnt vmcnt(2)
	v_mul_f64 v[124:125], v[82:83], v[170:171]
	v_mul_f64 v[126:127], v[80:81], v[170:171]
	;; [unrolled: 3-line block ×3, first 2 shown]
	v_fma_f64 v[17:18], v[17:18], v[148:149], -v[90:91]
	v_fma_f64 v[28:29], v[28:29], v[140:141], v[96:97]
	v_fma_f64 v[30:31], v[30:31], v[140:141], -v[98:99]
	v_fma_f64 v[19:20], v[19:20], v[52:53], v[92:93]
	v_fma_f64 v[21:22], v[21:22], v[52:53], -v[94:95]
	s_clause 0x1
	scratch_store_b128 off, v[168:171], off offset:208
	scratch_store_b128 off, v[172:175], off offset:224
	v_fma_f64 v[56:57], v[56:57], v[144:145], v[100:101]
	v_fma_f64 v[58:59], v[58:59], v[144:145], -v[102:103]
	s_load_b64 s[8:9], s[0:1], 0x38
	s_load_b128 s[4:7], s[6:7], 0x0
	v_fma_f64 v[60:61], v[60:61], v[132:133], v[104:105]
	v_fma_f64 v[62:63], v[62:63], v[132:133], -v[106:107]
	v_fma_f64 v[64:65], v[64:65], v[136:137], v[108:109]
	v_fma_f64 v[66:67], v[66:67], v[136:137], -v[110:111]
	;; [unrolled: 2-line block ×4, first 2 shown]
	ds_store_b128 v24, v[3:6]
	ds_store_b128 v24, v[11:14] offset:1792
	ds_store_b128 v24, v[15:18] offset:15232
	;; [unrolled: 1-line block ×9, first 2 shown]
	v_fma_f64 v[80:81], v[80:81], v[168:169], v[124:125]
	v_fma_f64 v[82:83], v[82:83], v[168:169], -v[126:127]
	v_fma_f64 v[76:77], v[76:77], v[164:165], v[120:121]
	v_fma_f64 v[78:79], v[78:79], v[164:165], -v[122:123]
	v_fma_f64 v[84:85], v[84:85], v[172:173], v[128:129]
	v_fma_f64 v[86:87], v[86:87], v[172:173], -v[130:131]
	ds_store_b128 v24, v[7:10] offset:13440
	ds_store_b128 v24, v[80:83] offset:10752
	;; [unrolled: 1-line block ×4, first 2 shown]
	s_and_saveexec_b32 s12, vcc_lo
	s_cbranch_execz .LBB0_3
; %bb.2:
	v_add_co_u32 v0, s2, v0, s2
	s_delay_alu instid0(VALU_DEP_1) | instskip(SKIP_1) | instid1(VALU_DEP_1)
	v_add_co_ci_u32_e64 v1, s2, s3, v1, s2
	v_add_co_u32 v8, s2, 0x6000, v27
	v_add_co_ci_u32_e64 v9, s2, 0, v248, s2
	s_delay_alu instid0(VALU_DEP_4) | instskip(NEXT) | instid1(VALU_DEP_1)
	v_add_co_u32 v12, s2, v0, s10
	v_add_co_ci_u32_e64 v13, s2, s11, v1, s2
	global_load_b128 v[0:3], v[0:1], off
	scratch_load_b64 v[4:5], off, off offset:16 ; 8-byte Folded Reload
	s_waitcnt vmcnt(0)
	s_clause 0x1
	global_load_b128 v[4:7], v[4:5], off offset:256
	global_load_b128 v[8:11], v[8:9], off offset:1408
	global_load_b128 v[12:15], v[12:13], off
	s_waitcnt vmcnt(2)
	v_mul_f64 v[16:17], v[2:3], v[6:7]
	v_mul_f64 v[6:7], v[0:1], v[6:7]
	s_waitcnt vmcnt(0)
	v_mul_f64 v[18:19], v[14:15], v[10:11]
	v_mul_f64 v[10:11], v[12:13], v[10:11]
	s_delay_alu instid0(VALU_DEP_4) | instskip(NEXT) | instid1(VALU_DEP_4)
	v_fma_f64 v[0:1], v[0:1], v[4:5], v[16:17]
	v_fma_f64 v[2:3], v[2:3], v[4:5], -v[6:7]
	s_delay_alu instid0(VALU_DEP_4) | instskip(NEXT) | instid1(VALU_DEP_4)
	v_fma_f64 v[4:5], v[12:13], v[8:9], v[18:19]
	v_fma_f64 v[6:7], v[14:15], v[8:9], -v[10:11]
	ds_store_b128 v24, v[0:3] offset:12544
	ds_store_b128 v24, v[4:7] offset:25984
.LBB0_3:
	s_or_b32 exec_lo, exec_lo, s12
	s_waitcnt lgkmcnt(0)
	s_waitcnt_vscnt null, 0x0
	s_barrier
	buffer_gl0_inv
	ds_load_b128 v[0:3], v24
	ds_load_b128 v[4:7], v24 offset:1792
	ds_load_b128 v[92:95], v24 offset:15232
	;; [unrolled: 1-line block ×13, first 2 shown]
                                        ; implicit-def: $vgpr72_vgpr73
                                        ; implicit-def: $vgpr60_vgpr61
	s_and_saveexec_b32 s2, vcc_lo
	s_cbranch_execz .LBB0_5
; %bb.4:
	ds_load_b128 v[72:75], v24 offset:12544
	ds_load_b128 v[60:63], v24 offset:25984
.LBB0_5:
	s_or_b32 exec_lo, exec_lo, s2
	s_waitcnt lgkmcnt(3)
	v_add_f64 v[96:97], v[0:1], -v[20:21]
	v_add_f64 v[98:99], v[2:3], -v[22:23]
	s_waitcnt lgkmcnt(1)
	v_add_f64 v[76:77], v[56:57], -v[76:77]
	v_add_f64 v[78:79], v[58:59], -v[78:79]
	;; [unrolled: 3-line block ×3, first 2 shown]
	v_add_f64 v[88:89], v[12:13], -v[88:89]
	v_add_f64 v[90:91], v[14:15], -v[90:91]
	;; [unrolled: 1-line block ×10, first 2 shown]
	s_load_b64 s[2:3], s[0:1], 0x8
	v_lshlrev_b32_e32 v22, 1, v25
	v_add_co_u32 v104, null, 0x310, v25
	v_add_co_u32 v30, s0, 0x70, v25
	s_delay_alu instid0(VALU_DEP_1)
	v_add_co_ci_u32_e64 v20, null, 0, 0, s0
	v_add_co_u32 v29, null, 0xe0, v25
	v_add_co_u32 v21, null, 0x150, v25
	;; [unrolled: 1-line block ×3, first 2 shown]
	v_add_nc_u32_e32 v112, 0x460, v22
	v_add_nc_u32_e32 v113, 0x540, v22
	v_lshlrev_b32_e32 v33, 5, v104
	s_waitcnt lgkmcnt(0)
	s_barrier
	buffer_gl0_inv
	v_lshlrev_b32_e32 v37, 5, v25
	v_lshlrev_b32_e32 v23, 1, v30
	v_fma_f64 v[0:1], v[0:1], 2.0, -v[96:97]
	v_fma_f64 v[2:3], v[2:3], 2.0, -v[98:99]
	;; [unrolled: 1-line block ×16, first 2 shown]
	v_lshlrev_b32_e32 v36, 5, v30
	v_lshlrev_b32_e32 v26, 1, v29
	;; [unrolled: 1-line block ×7, first 2 shown]
	scratch_store_b32 off, v33, off offset:372 ; 4-byte Folded Spill
	v_lshlrev_b32_e32 v39, 4, v112
	v_lshlrev_b32_e32 v33, 4, v113
	;; [unrolled: 1-line block ×3, first 2 shown]
	ds_store_b128 v37, v[0:3]
	ds_store_b128 v37, v[96:99] offset:16
	ds_store_b128 v36, v[4:7]
	scratch_store_b32 off, v36, off offset:252 ; 4-byte Folded Spill
	ds_store_b128 v36, v[92:95] offset:16
	ds_store_b128 v35, v[12:15]
	scratch_store_b32 off, v35, off offset:248 ; 4-byte Folded Spill
	;; [unrolled: 3-line block ×4, first 2 shown]
	ds_store_b128 v38, v[80:83] offset:16
	ds_store_b128 v32, v[100:103] offset:17920
	scratch_store_b32 off, v39, off offset:272 ; 4-byte Folded Spill
	ds_store_b128 v39, v[76:79] offset:16
	ds_store_b128 v32, v[68:71] offset:21504
	scratch_store_b32 off, v33, off offset:260 ; 4-byte Folded Spill
	ds_store_b128 v33, v[16:19] offset:16
	s_and_saveexec_b32 s0, vcc_lo
	s_cbranch_execz .LBB0_7
; %bb.6:
	v_lshlrev_b32_e32 v0, 5, v104
	ds_store_b128 v0, v[56:59]
	ds_store_b128 v0, v[60:63] offset:16
.LBB0_7:
	s_or_b32 exec_lo, exec_lo, s0
	s_waitcnt lgkmcnt(0)
	s_waitcnt_vscnt null, 0x0
	s_barrier
	buffer_gl0_inv
	ds_load_b128 v[64:67], v24
	ds_load_b128 v[68:71], v24 offset:1792
	ds_load_b128 v[0:3], v24 offset:15232
	;; [unrolled: 1-line block ×13, first 2 shown]
	s_and_saveexec_b32 s0, vcc_lo
	s_cbranch_execz .LBB0_9
; %bb.8:
	ds_load_b128 v[56:59], v24 offset:12544
	ds_load_b128 v[60:63], v24 offset:25984
.LBB0_9:
	s_or_b32 exec_lo, exec_lo, s0
	v_and_b32_e32 v44, 1, v25
	v_lshlrev_b32_e32 v55, 1, v104
	s_delay_alu instid0(VALU_DEP_2)
	v_lshlrev_b32_e32 v32, 4, v44
	global_load_b128 v[88:91], v32, s[2:3]
	s_waitcnt vmcnt(0) lgkmcnt(0)
	s_barrier
	buffer_gl0_inv
	v_mul_f64 v[32:33], v[102:103], v[90:91]
	v_mul_f64 v[34:35], v[100:101], v[90:91]
	;; [unrolled: 1-line block ×16, first 2 shown]
	v_fma_f64 v[32:33], v[100:101], v[88:89], -v[32:33]
	v_fma_f64 v[34:35], v[102:103], v[88:89], v[34:35]
	v_fma_f64 v[60:61], v[60:61], v[88:89], -v[124:125]
	v_fma_f64 v[62:63], v[62:63], v[88:89], v[126:127]
	;; [unrolled: 2-line block ×8, first 2 shown]
	v_add_f64 v[0:1], v[64:65], -v[32:33]
	v_add_f64 v[2:3], v[66:67], -v[34:35]
	v_add_f64 v[60:61], v[56:57], -v[60:61]
	v_add_f64 v[62:63], v[58:59], -v[62:63]
	v_add_f64 v[4:5], v[68:69], -v[36:37]
	v_add_f64 v[6:7], v[70:71], -v[38:39]
	v_add_f64 v[8:9], v[76:77], -v[40:41]
	v_add_f64 v[10:11], v[78:79], -v[42:43]
	v_add_f64 v[12:13], v[72:73], -v[100:101]
	v_add_f64 v[14:15], v[74:75], -v[102:103]
	v_add_f64 v[16:17], v[84:85], -v[105:106]
	v_add_f64 v[18:19], v[86:87], -v[107:108]
	v_add_f64 v[96:97], v[80:81], -v[96:97]
	v_add_f64 v[98:99], v[82:83], -v[98:99]
	v_add_f64 v[100:101], v[92:93], -v[109:110]
	v_add_f64 v[102:103], v[94:95], -v[114:115]
	v_and_or_b32 v32, 0xfc, v22, v44
	v_and_or_b32 v33, 0x1fc, v23, v44
	;; [unrolled: 1-line block ×7, first 2 shown]
	v_lshlrev_b32_e32 v41, 4, v32
	v_lshlrev_b32_e32 v40, 4, v33
	;; [unrolled: 1-line block ×7, first 2 shown]
	scratch_store_b32 off, v41, off offset:360 ; 4-byte Folded Spill
	v_fma_f64 v[64:65], v[64:65], 2.0, -v[0:1]
	v_fma_f64 v[66:67], v[66:67], 2.0, -v[2:3]
	;; [unrolled: 1-line block ×16, first 2 shown]
	ds_store_b128 v41, v[64:67]
	ds_store_b128 v41, v[0:3] offset:32
	ds_store_b128 v40, v[68:71]
	scratch_store_b32 off, v40, off offset:348 ; 4-byte Folded Spill
	ds_store_b128 v40, v[4:7] offset:32
	ds_store_b128 v39, v[76:79]
	scratch_store_b32 off, v39, off offset:332 ; 4-byte Folded Spill
	;; [unrolled: 3-line block ×6, first 2 shown]
	ds_store_b128 v32, v[100:103] offset:32
	s_and_saveexec_b32 s0, vcc_lo
	s_cbranch_execz .LBB0_11
; %bb.10:
	v_and_b32_e32 v0, 1, v25
	s_delay_alu instid0(VALU_DEP_1) | instskip(NEXT) | instid1(VALU_DEP_1)
	v_and_or_b32 v0, 0x6fc, v55, v0
	v_lshlrev_b32_e32 v0, 4, v0
	ds_store_b128 v0, v[56:59]
	ds_store_b128 v0, v[60:63] offset:32
.LBB0_11:
	s_or_b32 exec_lo, exec_lo, s0
	s_waitcnt lgkmcnt(0)
	s_waitcnt_vscnt null, 0x0
	s_barrier
	buffer_gl0_inv
	ds_load_b128 v[64:67], v24
	ds_load_b128 v[68:71], v24 offset:1792
	ds_load_b128 v[0:3], v24 offset:15232
	;; [unrolled: 1-line block ×13, first 2 shown]
	s_and_saveexec_b32 s0, vcc_lo
	s_cbranch_execz .LBB0_13
; %bb.12:
	ds_load_b128 v[56:59], v24 offset:12544
	ds_load_b128 v[60:63], v24 offset:25984
.LBB0_13:
	s_or_b32 exec_lo, exec_lo, s0
	v_and_b32_e32 v44, 3, v25
	s_delay_alu instid0(VALU_DEP_1)
	v_lshlrev_b32_e32 v32, 4, v44
	global_load_b128 v[92:95], v32, s[2:3] offset:32
	s_waitcnt vmcnt(0) lgkmcnt(0)
	s_barrier
	buffer_gl0_inv
	v_mul_f64 v[32:33], v[106:107], v[94:95]
	v_mul_f64 v[34:35], v[104:105], v[94:95]
	;; [unrolled: 1-line block ×16, first 2 shown]
	v_fma_f64 v[32:33], v[104:105], v[92:93], -v[32:33]
	v_fma_f64 v[34:35], v[106:107], v[92:93], v[34:35]
	v_fma_f64 v[60:61], v[60:61], v[92:93], -v[126:127]
	v_fma_f64 v[62:63], v[62:63], v[92:93], v[128:129]
	;; [unrolled: 2-line block ×8, first 2 shown]
	v_add_f64 v[0:1], v[64:65], -v[32:33]
	v_add_f64 v[2:3], v[66:67], -v[34:35]
	;; [unrolled: 1-line block ×16, first 2 shown]
	v_and_or_b32 v32, 0xf8, v22, v44
	v_and_or_b32 v33, 0x1f8, v23, v44
	;; [unrolled: 1-line block ×7, first 2 shown]
	v_lshlrev_b32_e32 v41, 4, v32
	v_lshlrev_b32_e32 v40, 4, v33
	;; [unrolled: 1-line block ×7, first 2 shown]
	scratch_store_b32 off, v41, off offset:352 ; 4-byte Folded Spill
	v_fma_f64 v[64:65], v[64:65], 2.0, -v[0:1]
	v_fma_f64 v[66:67], v[66:67], 2.0, -v[2:3]
	;; [unrolled: 1-line block ×16, first 2 shown]
	ds_store_b128 v41, v[64:67]
	ds_store_b128 v41, v[0:3] offset:64
	ds_store_b128 v40, v[68:71]
	scratch_store_b32 off, v40, off offset:340 ; 4-byte Folded Spill
	ds_store_b128 v40, v[4:7] offset:64
	ds_store_b128 v39, v[76:79]
	scratch_store_b32 off, v39, off offset:324 ; 4-byte Folded Spill
	;; [unrolled: 3-line block ×6, first 2 shown]
	ds_store_b128 v32, v[104:107] offset:64
	s_and_saveexec_b32 s0, vcc_lo
	s_cbranch_execz .LBB0_15
; %bb.14:
	v_and_b32_e32 v0, 3, v25
	s_delay_alu instid0(VALU_DEP_1) | instskip(NEXT) | instid1(VALU_DEP_1)
	v_and_or_b32 v0, 0x6f8, v55, v0
	v_lshlrev_b32_e32 v0, 4, v0
	ds_store_b128 v0, v[56:59]
	ds_store_b128 v0, v[60:63] offset:64
.LBB0_15:
	s_or_b32 exec_lo, exec_lo, s0
	s_waitcnt lgkmcnt(0)
	s_waitcnt_vscnt null, 0x0
	s_barrier
	buffer_gl0_inv
	ds_load_b128 v[68:71], v24
	ds_load_b128 v[72:75], v24 offset:1792
	ds_load_b128 v[4:7], v24 offset:15232
	;; [unrolled: 1-line block ×13, first 2 shown]
	s_and_saveexec_b32 s0, vcc_lo
	s_cbranch_execz .LBB0_17
; %bb.16:
	ds_load_b128 v[56:59], v24 offset:12544
	ds_load_b128 v[60:63], v24 offset:25984
.LBB0_17:
	s_or_b32 exec_lo, exec_lo, s0
	v_and_b32_e32 v44, 7, v25
	s_delay_alu instid0(VALU_DEP_1)
	v_lshlrev_b32_e32 v32, 4, v44
	v_and_or_b32 v22, 0xf0, v22, v44
	v_and_or_b32 v23, 0x1f0, v23, v44
	;; [unrolled: 1-line block ×4, first 2 shown]
	global_load_b128 v[80:83], v32, s[2:3] offset:96
	v_and_or_b32 v31, 0x7f0, v31, v44
	s_waitcnt vmcnt(0) lgkmcnt(0)
	s_barrier
	v_lshlrev_b32_e32 v28, 4, v28
	buffer_gl0_inv
	v_mul_f64 v[32:33], v[110:111], v[82:83]
	v_mul_f64 v[34:35], v[108:109], v[82:83]
	;; [unrolled: 1-line block ×14, first 2 shown]
	v_fma_f64 v[32:33], v[108:109], v[80:81], -v[32:33]
	v_fma_f64 v[34:35], v[110:111], v[80:81], v[34:35]
	v_fma_f64 v[104:105], v[104:105], v[80:81], -v[122:123]
	v_fma_f64 v[106:107], v[106:107], v[80:81], v[124:125]
	v_mul_f64 v[122:123], v[62:63], v[82:83]
	v_mul_f64 v[124:125], v[60:61], v[82:83]
	v_fma_f64 v[36:37], v[4:5], v[80:81], -v[36:37]
	v_fma_f64 v[38:39], v[6:7], v[80:81], v[38:39]
	v_fma_f64 v[40:41], v[8:9], v[80:81], -v[40:41]
	v_fma_f64 v[42:43], v[10:11], v[80:81], v[42:43]
	v_fma_f64 v[108:109], v[12:13], v[80:81], -v[114:115]
	v_fma_f64 v[110:111], v[14:15], v[80:81], v[116:117]
	v_fma_f64 v[114:115], v[16:17], v[80:81], -v[118:119]
	v_fma_f64 v[116:117], v[18:19], v[80:81], v[120:121]
	v_fma_f64 v[118:119], v[100:101], v[80:81], -v[126:127]
	v_fma_f64 v[120:121], v[102:103], v[80:81], v[128:129]
	v_add_f64 v[4:5], v[68:69], -v[32:33]
	v_add_f64 v[6:7], v[70:71], -v[34:35]
	;; [unrolled: 1-line block ×4, first 2 shown]
	v_fma_f64 v[32:33], v[60:61], v[80:81], -v[122:123]
	v_fma_f64 v[34:35], v[62:63], v[80:81], v[124:125]
	v_add_f64 v[8:9], v[72:73], -v[36:37]
	v_add_f64 v[10:11], v[74:75], -v[38:39]
	;; [unrolled: 1-line block ×10, first 2 shown]
	v_lshlrev_b32_e32 v36, 4, v22
	scratch_store_b32 off, v36, off offset:356 ; 4-byte Folded Spill
	v_fma_f64 v[68:69], v[68:69], 2.0, -v[4:5]
	v_fma_f64 v[70:71], v[70:71], 2.0, -v[6:7]
	;; [unrolled: 1-line block ×4, first 2 shown]
	v_add_f64 v[60:61], v[56:57], -v[32:33]
	v_add_f64 v[62:63], v[58:59], -v[34:35]
	v_fma_f64 v[72:73], v[72:73], 2.0, -v[8:9]
	v_fma_f64 v[74:75], v[74:75], 2.0, -v[10:11]
	;; [unrolled: 1-line block ×10, first 2 shown]
	v_and_or_b32 v32, 0x5f0, v112, v44
	v_and_or_b32 v33, 0x7f0, v113, v44
	v_lshlrev_b32_e32 v35, 4, v23
	v_lshlrev_b32_e32 v34, 4, v26
	;; [unrolled: 1-line block ×5, first 2 shown]
	ds_store_b128 v36, v[68:71]
	ds_store_b128 v36, v[4:7] offset:128
	ds_store_b128 v35, v[72:75]
	scratch_store_b32 off, v35, off offset:344 ; 4-byte Folded Spill
	ds_store_b128 v35, v[8:11] offset:128
	ds_store_b128 v34, v[0:3]
	scratch_store_b32 off, v34, off offset:328 ; 4-byte Folded Spill
	;; [unrolled: 3-line block ×6, first 2 shown]
	ds_store_b128 v22, v[108:111] offset:128
	s_and_saveexec_b32 s0, vcc_lo
	s_cbranch_execz .LBB0_19
; %bb.18:
	v_fma_f64 v[2:3], v[58:59], 2.0, -v[62:63]
	v_fma_f64 v[0:1], v[56:57], 2.0, -v[60:61]
	v_and_b32_e32 v4, 7, v25
	s_delay_alu instid0(VALU_DEP_1) | instskip(NEXT) | instid1(VALU_DEP_1)
	v_and_or_b32 v4, 0x6f0, v55, v4
	v_lshlrev_b32_e32 v4, 4, v4
	ds_store_b128 v4, v[0:3]
	ds_store_b128 v4, v[60:63] offset:128
.LBB0_19:
	s_or_b32 exec_lo, exec_lo, s0
	v_and_b32_e32 v26, 15, v25
	s_waitcnt lgkmcnt(0)
	s_waitcnt_vscnt null, 0x0
	s_barrier
	buffer_gl0_inv
	s_mov_b32 s0, 0xe8584caa
	v_lshlrev_b32_e32 v0, 5, v26
	s_mov_b32 s1, 0x3febb67a
	s_mov_b32 s11, 0xbfebb67a
	;; [unrolled: 1-line block ×3, first 2 shown]
	v_lshrrev_b32_e32 v28, 4, v29
	s_clause 0x1
	global_load_b128 v[96:99], v0, s[2:3] offset:224
	global_load_b128 v[84:87], v0, s[2:3] offset:240
	ds_load_b128 v[0:3], v24 offset:8960
	ds_load_b128 v[4:7], v24 offset:17920
	;; [unrolled: 1-line block ×11, first 2 shown]
	v_lshrrev_b32_e32 v21, 4, v21
	v_lshrrev_b32_e32 v20, 4, v20
	v_mul_u32_u24_e32 v28, 48, v28
                                        ; implicit-def: $vgpr160_vgpr161
                                        ; implicit-def: $vgpr164_vgpr165
	s_delay_alu instid0(VALU_DEP_3) | instskip(NEXT) | instid1(VALU_DEP_3)
	v_mul_u32_u24_e32 v21, 48, v21
	v_mul_u32_u24_e32 v20, 48, v20
	s_delay_alu instid0(VALU_DEP_3) | instskip(NEXT) | instid1(VALU_DEP_3)
	v_or_b32_e32 v28, v28, v26
	v_or_b32_e32 v21, v21, v26
	s_delay_alu instid0(VALU_DEP_3) | instskip(NEXT) | instid1(VALU_DEP_2)
	v_or_b32_e32 v20, v20, v26
	v_lshlrev_b32_e32 v21, 4, v21
	s_delay_alu instid0(VALU_DEP_2)
	v_lshlrev_b32_e32 v20, 4, v20
	s_waitcnt vmcnt(1) lgkmcnt(10)
	v_mul_f64 v[22:23], v[2:3], v[98:99]
	v_mul_f64 v[31:32], v[0:1], v[98:99]
	s_waitcnt vmcnt(0) lgkmcnt(9)
	v_mul_f64 v[33:34], v[6:7], v[86:87]
	v_mul_f64 v[35:36], v[4:5], v[86:87]
	s_waitcnt lgkmcnt(8)
	v_mul_f64 v[37:38], v[10:11], v[98:99]
	v_mul_f64 v[39:40], v[8:9], v[98:99]
	s_waitcnt lgkmcnt(7)
	;; [unrolled: 3-line block ×5, first 2 shown]
	v_mul_f64 v[114:115], v[66:67], v[98:99]
	s_waitcnt lgkmcnt(3)
	v_mul_f64 v[116:117], v[70:71], v[86:87]
	v_mul_f64 v[118:119], v[64:65], v[98:99]
	;; [unrolled: 1-line block ×3, first 2 shown]
	s_waitcnt lgkmcnt(2)
	v_mul_f64 v[122:123], v[74:75], v[98:99]
	s_waitcnt lgkmcnt(1)
	v_mul_f64 v[124:125], v[78:79], v[86:87]
	v_mul_f64 v[126:127], v[72:73], v[98:99]
	;; [unrolled: 1-line block ×3, first 2 shown]
	v_fma_f64 v[22:23], v[0:1], v[96:97], -v[22:23]
	v_fma_f64 v[31:32], v[2:3], v[96:97], v[31:32]
	v_fma_f64 v[33:34], v[4:5], v[84:85], -v[33:34]
	v_fma_f64 v[35:36], v[6:7], v[84:85], v[35:36]
	;; [unrolled: 2-line block ×6, first 2 shown]
	v_fma_f64 v[64:65], v[64:65], v[96:97], -v[114:115]
	v_fma_f64 v[68:69], v[68:69], v[84:85], -v[116:117]
	v_fma_f64 v[66:67], v[66:67], v[96:97], v[118:119]
	v_fma_f64 v[70:71], v[70:71], v[84:85], v[120:121]
	v_fma_f64 v[72:73], v[72:73], v[96:97], -v[122:123]
	v_fma_f64 v[76:77], v[76:77], v[84:85], -v[124:125]
	v_fma_f64 v[74:75], v[74:75], v[96:97], v[126:127]
	v_fma_f64 v[78:79], v[78:79], v[84:85], v[128:129]
	ds_load_b128 v[0:3], v24
	ds_load_b128 v[4:7], v24 offset:1792
	ds_load_b128 v[8:11], v24 offset:3584
	;; [unrolled: 1-line block ×3, first 2 shown]
	s_waitcnt lgkmcnt(0)
	s_barrier
	buffer_gl0_inv
	v_add_f64 v[126:127], v[0:1], v[22:23]
	v_add_f64 v[106:107], v[22:23], v[33:34]
	;; [unrolled: 1-line block ×3, first 2 shown]
	v_add_f64 v[128:129], v[31:32], -v[35:36]
	v_add_f64 v[110:111], v[37:38], v[41:42]
	v_add_f64 v[112:113], v[39:40], v[104:105]
	;; [unrolled: 1-line block ×14, first 2 shown]
	v_add_f64 v[22:23], v[22:23], -v[33:34]
	v_add_f64 v[39:40], v[39:40], -v[104:105]
	;; [unrolled: 1-line block ×9, first 2 shown]
	v_add_f64 v[134:135], v[8:9], v[16:17]
	v_add_f64 v[140:141], v[14:15], v[66:67]
	;; [unrolled: 1-line block ×3, first 2 shown]
	v_fma_f64 v[106:107], v[106:107], -0.5, v[0:1]
	v_fma_f64 v[108:109], v[108:109], -0.5, v[2:3]
	v_add_f64 v[0:1], v[126:127], v[33:34]
	v_fma_f64 v[110:111], v[110:111], -0.5, v[4:5]
	v_fma_f64 v[112:113], v[112:113], -0.5, v[6:7]
	v_add_f64 v[2:3], v[31:32], v[35:36]
	v_add_f64 v[4:5], v[130:131], v[41:42]
	v_fma_f64 v[114:115], v[114:115], -0.5, v[8:9]
	v_fma_f64 v[116:117], v[116:117], -0.5, v[10:11]
	v_add_f64 v[6:7], v[132:133], v[104:105]
	v_fma_f64 v[118:119], v[118:119], -0.5, v[12:13]
	v_add_f64 v[10:11], v[136:137], v[58:59]
	;; [unrolled: 2-line block ×5, first 2 shown]
	v_add_f64 v[14:15], v[140:141], v[70:71]
	v_add_f64 v[16:17], v[142:143], v[76:77]
	v_fma_f64 v[64:65], v[128:129], s[10:11], v[106:107]
	v_fma_f64 v[58:59], v[22:23], s[10:11], v[108:109]
	;; [unrolled: 1-line block ×20, first 2 shown]
	v_lshrrev_b32_e32 v22, 4, v25
	v_lshrrev_b32_e32 v23, 4, v30
	v_cmp_gt_u16_e64 s0, 16, v25
	s_delay_alu instid0(VALU_DEP_3) | instskip(NEXT) | instid1(VALU_DEP_3)
	v_mul_u32_u24_e32 v22, 48, v22
	v_mul_u32_u24_e32 v23, 48, v23
	s_delay_alu instid0(VALU_DEP_2) | instskip(NEXT) | instid1(VALU_DEP_2)
	v_or_b32_e32 v22, v22, v26
	v_or_b32_e32 v23, v23, v26
	s_delay_alu instid0(VALU_DEP_2) | instskip(NEXT) | instid1(VALU_DEP_2)
	v_lshlrev_b32_e32 v26, 4, v22
	v_lshlrev_b32_e32 v23, 4, v23
	;; [unrolled: 1-line block ×3, first 2 shown]
	ds_store_b128 v26, v[0:3]
	ds_store_b128 v26, v[56:59] offset:256
	scratch_store_b32 off, v26, off offset:364 ; 4-byte Folded Spill
	ds_store_b128 v26, v[64:67] offset:512
	ds_store_b128 v23, v[4:7]
	ds_store_b128 v23, v[68:71] offset:256
	scratch_store_b32 off, v23, off offset:336 ; 4-byte Folded Spill
	ds_store_b128 v23, v[72:75] offset:512
	;; [unrolled: 4-line block ×5, first 2 shown]
	s_waitcnt lgkmcnt(0)
	s_waitcnt_vscnt null, 0x0
	s_barrier
	buffer_gl0_inv
	ds_load_b128 v[156:159], v24
	ds_load_b128 v[152:155], v24 offset:1792
	ds_load_b128 v[104:107], v24 offset:3840
	ds_load_b128 v[124:127], v24 offset:5632
	ds_load_b128 v[108:111], v24 offset:7680
	ds_load_b128 v[128:131], v24 offset:9472
	ds_load_b128 v[140:143], v24 offset:11520
	ds_load_b128 v[64:67], v24 offset:13312
	ds_load_b128 v[120:123], v24 offset:15360
	ds_load_b128 v[56:59], v24 offset:17152
	ds_load_b128 v[116:119], v24 offset:19200
	ds_load_b128 v[136:139], v24 offset:20992
	ds_load_b128 v[112:115], v24 offset:23040
	ds_load_b128 v[132:135], v24 offset:24832
                                        ; implicit-def: $vgpr68_vgpr69
                                        ; implicit-def: $vgpr76_vgpr77
                                        ; implicit-def: $vgpr72_vgpr73
	s_and_saveexec_b32 s1, s0
	s_cbranch_execz .LBB0_21
; %bb.20:
	ds_load_b128 v[148:151], v24 offset:3584
	ds_load_b128 v[60:63], v24 offset:7424
	ds_load_b128 v[68:71], v24 offset:11264
	ds_load_b128 v[76:79], v24 offset:15104
	ds_load_b128 v[160:163], v24 offset:18944
	ds_load_b128 v[72:75], v24 offset:22784
	ds_load_b128 v[164:167], v24 offset:26624
.LBB0_21:
	s_or_b32 exec_lo, exec_lo, s1
	v_and_b32_e32 v0, 0xff, v25
	s_mov_b32 s18, 0xe976ee23
	s_mov_b32 s19, 0xbfe11646
	s_mov_b32 s10, 0x36b3c0b5
	s_mov_b32 s12, 0x429ad128
	v_mul_lo_u16 v0, 0xab, v0
	s_mov_b32 s24, 0x37e14327
	s_mov_b32 s11, 0x3fac98ee
	;; [unrolled: 1-line block ×4, first 2 shown]
	v_lshrrev_b16 v26, 13, v0
	s_mov_b32 s14, 0xaaaaaaaa
	s_mov_b32 s16, 0x5476071b
	;; [unrolled: 1-line block ×4, first 2 shown]
	v_mul_lo_u16 v0, v26, 48
	s_mov_b32 s15, 0xbff2aaaa
	s_mov_b32 s17, 0x3fe77f67
	;; [unrolled: 1-line block ×4, first 2 shown]
	v_sub_nc_u16 v0, v25, v0
	s_mov_b32 s23, 0x3fd5d0dc
	s_mov_b32 s29, 0xbfd5d0dc
	;; [unrolled: 1-line block ×4, first 2 shown]
	v_and_b32_e32 v28, 0xff, v0
	s_delay_alu instid0(VALU_DEP_1) | instskip(SKIP_3) | instid1(VALU_DEP_1)
	v_mad_u64_u32 v[16:17], null, 0x60, v28, s[2:3]
	global_load_b128 v[100:103], v[16:17], off offset:736
	s_waitcnt vmcnt(0) lgkmcnt(11)
	v_mul_f64 v[0:1], v[106:107], v[102:103]
	v_fma_f64 v[186:187], v[104:105], v[100:101], -v[0:1]
	v_mul_f64 v[0:1], v[104:105], v[102:103]
	s_delay_alu instid0(VALU_DEP_1) | instskip(SKIP_3) | instid1(VALU_DEP_1)
	v_fma_f64 v[188:189], v[106:107], v[100:101], v[0:1]
	global_load_b128 v[104:107], v[16:17], off offset:752
	s_waitcnt vmcnt(0) lgkmcnt(9)
	v_mul_f64 v[0:1], v[110:111], v[106:107]
	v_fma_f64 v[190:191], v[108:109], v[104:105], -v[0:1]
	v_mul_f64 v[0:1], v[108:109], v[106:107]
	s_delay_alu instid0(VALU_DEP_1) | instskip(SKIP_3) | instid1(VALU_DEP_1)
	v_fma_f64 v[192:193], v[110:111], v[104:105], v[0:1]
	global_load_b128 v[108:111], v[16:17], off offset:816
	s_waitcnt vmcnt(0) lgkmcnt(1)
	v_mul_f64 v[0:1], v[114:115], v[110:111]
	v_fma_f64 v[194:195], v[112:113], v[108:109], -v[0:1]
	v_mul_f64 v[0:1], v[112:113], v[110:111]
	s_delay_alu instid0(VALU_DEP_1) | instskip(SKIP_4) | instid1(VALU_DEP_1)
	v_fma_f64 v[196:197], v[114:115], v[108:109], v[0:1]
	global_load_b128 v[112:115], v[16:17], off offset:800
	v_add_f64 v[206:207], v[188:189], v[196:197]
	s_waitcnt vmcnt(0)
	v_mul_f64 v[0:1], v[118:119], v[114:115]
	v_fma_f64 v[198:199], v[116:117], v[112:113], -v[0:1]
	v_mul_f64 v[0:1], v[116:117], v[114:115]
	s_delay_alu instid0(VALU_DEP_1) | instskip(SKIP_1) | instid1(VALU_DEP_1)
	v_fma_f64 v[200:201], v[118:119], v[112:113], v[0:1]
	v_and_b32_e32 v0, 0xff, v30
	v_mul_lo_u16 v0, 0xab, v0
	s_delay_alu instid0(VALU_DEP_1) | instskip(NEXT) | instid1(VALU_DEP_1)
	v_lshrrev_b16 v31, 13, v0
	v_mul_lo_u16 v0, v31, 48
	s_delay_alu instid0(VALU_DEP_1) | instskip(NEXT) | instid1(VALU_DEP_1)
	v_sub_nc_u16 v0, v30, v0
	v_and_b32_e32 v202, 0xff, v0
	s_delay_alu instid0(VALU_DEP_1)
	v_mad_u64_u32 v[18:19], null, 0x60, v202, s[2:3]
	v_add_f64 v[208:209], v[192:193], v[200:201]
	s_clause 0x1
	global_load_b128 v[116:119], v[18:19], off offset:736
	global_load_b128 v[144:147], v[18:19], off offset:784
	v_add_f64 v[212:213], v[208:209], v[206:207]
	s_waitcnt vmcnt(1)
	v_mul_f64 v[0:1], v[126:127], v[118:119]
	v_mul_f64 v[2:3], v[124:125], v[118:119]
	s_delay_alu instid0(VALU_DEP_2) | instskip(NEXT) | instid1(VALU_DEP_2)
	v_fma_f64 v[0:1], v[124:125], v[116:117], -v[0:1]
	v_fma_f64 v[2:3], v[126:127], v[116:117], v[2:3]
	global_load_b128 v[124:127], v[18:19], off offset:752
	s_waitcnt vmcnt(0)
	v_mul_f64 v[4:5], v[130:131], v[126:127]
	v_mul_f64 v[6:7], v[128:129], v[126:127]
	s_delay_alu instid0(VALU_DEP_2) | instskip(NEXT) | instid1(VALU_DEP_2)
	v_fma_f64 v[4:5], v[128:129], v[124:125], -v[4:5]
	v_fma_f64 v[6:7], v[130:131], v[124:125], v[6:7]
	global_load_b128 v[128:131], v[18:19], off offset:816
	s_waitcnt vmcnt(0) lgkmcnt(0)
	v_mul_f64 v[8:9], v[134:135], v[130:131]
	v_mul_f64 v[10:11], v[132:133], v[130:131]
	s_delay_alu instid0(VALU_DEP_2) | instskip(NEXT) | instid1(VALU_DEP_2)
	v_fma_f64 v[8:9], v[132:133], v[128:129], -v[8:9]
	v_fma_f64 v[10:11], v[134:135], v[128:129], v[10:11]
	global_load_b128 v[132:135], v[18:19], off offset:800
	v_add_f64 v[216:217], v[0:1], v[8:9]
	v_add_f64 v[228:229], v[2:3], v[10:11]
	v_add_f64 v[8:9], v[0:1], -v[8:9]
	v_add_f64 v[10:11], v[2:3], -v[10:11]
	s_waitcnt vmcnt(0)
	v_mul_f64 v[12:13], v[138:139], v[134:135]
	v_mul_f64 v[14:15], v[136:137], v[134:135]
	s_delay_alu instid0(VALU_DEP_2) | instskip(NEXT) | instid1(VALU_DEP_2)
	v_fma_f64 v[12:13], v[136:137], v[132:133], -v[12:13]
	v_fma_f64 v[14:15], v[138:139], v[132:133], v[14:15]
	global_load_b128 v[136:139], v[16:17], off offset:768
	v_add_f64 v[218:219], v[4:5], v[12:13]
	v_add_f64 v[230:231], v[6:7], v[14:15]
	v_add_f64 v[4:5], v[4:5], -v[12:13]
	v_add_f64 v[6:7], v[6:7], -v[14:15]
	s_delay_alu instid0(VALU_DEP_4) | instskip(SKIP_2) | instid1(VALU_DEP_1)
	v_add_f64 v[214:215], v[218:219], v[216:217]
	s_waitcnt vmcnt(0)
	v_mul_f64 v[20:21], v[142:143], v[138:139]
	v_fma_f64 v[32:33], v[140:141], v[136:137], -v[20:21]
	v_mul_f64 v[20:21], v[140:141], v[138:139]
	s_delay_alu instid0(VALU_DEP_1) | instskip(SKIP_3) | instid1(VALU_DEP_1)
	v_fma_f64 v[34:35], v[142:143], v[136:137], v[20:21]
	global_load_b128 v[140:143], v[16:17], off offset:784
	s_waitcnt vmcnt(0)
	v_mul_f64 v[16:17], v[122:123], v[142:143]
	v_fma_f64 v[36:37], v[120:121], v[140:141], -v[16:17]
	v_mul_f64 v[16:17], v[120:121], v[142:143]
	s_delay_alu instid0(VALU_DEP_1) | instskip(SKIP_4) | instid1(VALU_DEP_3)
	v_fma_f64 v[38:39], v[122:123], v[140:141], v[16:17]
	global_load_b128 v[120:123], v[18:19], off offset:768
	v_add_f64 v[210:211], v[34:35], v[38:39]
	v_add_f64 v[34:35], v[38:39], -v[34:35]
	v_add_f64 v[38:39], v[188:189], -v[196:197]
	v_add_f64 v[212:213], v[210:211], v[212:213]
	s_delay_alu instid0(VALU_DEP_1) | instskip(NEXT) | instid1(VALU_DEP_1)
	v_add_f64 v[158:159], v[158:159], v[212:213]
	v_fma_f64 v[46:47], v[212:213], s[14:15], v[158:159]
	s_waitcnt vmcnt(0)
	v_mul_f64 v[16:17], v[66:67], v[122:123]
	s_delay_alu instid0(VALU_DEP_1) | instskip(SKIP_1) | instid1(VALU_DEP_1)
	v_fma_f64 v[180:181], v[64:65], v[120:121], -v[16:17]
	v_mul_f64 v[16:17], v[64:65], v[122:123]
	v_fma_f64 v[178:179], v[66:67], v[120:121], v[16:17]
	v_mul_f64 v[16:17], v[58:59], v[146:147]
	s_delay_alu instid0(VALU_DEP_1) | instskip(SKIP_1) | instid1(VALU_DEP_2)
	v_fma_f64 v[184:185], v[56:57], v[144:145], -v[16:17]
	v_mul_f64 v[16:17], v[56:57], v[146:147]
	v_add_f64 v[224:225], v[180:181], v[184:185]
	s_delay_alu instid0(VALU_DEP_2) | instskip(SKIP_2) | instid1(VALU_DEP_2)
	v_fma_f64 v[182:183], v[58:59], v[144:145], v[16:17]
	v_and_b32_e32 v16, 0xffff, v29
	v_add_f64 v[12:13], v[184:185], -v[180:181]
	v_mul_u32_u24_e32 v16, 0xaaab, v16
	s_delay_alu instid0(VALU_DEP_1) | instskip(NEXT) | instid1(VALU_DEP_1)
	v_lshrrev_b32_e32 v16, 21, v16
	v_mul_lo_u16 v16, v16, 48
	s_delay_alu instid0(VALU_DEP_1) | instskip(NEXT) | instid1(VALU_DEP_1)
	v_sub_nc_u16 v203, v29, v16
	v_mul_lo_u16 v16, 0x60, v203
	s_delay_alu instid0(VALU_DEP_1) | instskip(NEXT) | instid1(VALU_DEP_1)
	v_and_b32_e32 v16, 0xffff, v16
	v_add_co_u32 v40, s1, s2, v16
	s_delay_alu instid0(VALU_DEP_1)
	v_add_co_ci_u32_e64 v41, null, s3, 0, s1
	v_add_f64 v[226:227], v[224:225], v[214:215]
	v_add_f64 v[232:233], v[178:179], v[182:183]
	;; [unrolled: 1-line block ×3, first 2 shown]
	s_clause 0x1
	global_load_b128 v[56:59], v[40:41], off offset:736
	global_load_b128 v[64:67], v[40:41], off offset:816
	v_add_f64 v[14:15], v[182:183], -v[178:179]
	v_add_f64 v[2:3], v[12:13], -v[4:5]
	v_add_f64 v[0:1], v[12:13], v[4:5]
	v_add_f64 v[152:153], v[152:153], v[226:227]
	v_add_f64 v[234:235], v[232:233], v[214:215]
	s_delay_alu instid0(VALU_DEP_2) | instskip(NEXT) | instid1(VALU_DEP_2)
	v_fma_f64 v[180:181], v[226:227], s[14:15], v[152:153]
	v_add_f64 v[154:155], v[154:155], v[234:235]
	s_delay_alu instid0(VALU_DEP_1) | instskip(SKIP_4) | instid1(VALU_DEP_2)
	v_fma_f64 v[182:183], v[234:235], s[14:15], v[154:155]
	s_waitcnt vmcnt(1)
	v_mul_f64 v[16:17], v[62:63], v[58:59]
	s_waitcnt vmcnt(0)
	v_mul_f64 v[42:43], v[166:167], v[66:67]
	v_fma_f64 v[18:19], v[60:61], v[56:57], -v[16:17]
	v_mul_f64 v[16:17], v[60:61], v[58:59]
	s_delay_alu instid0(VALU_DEP_3) | instskip(SKIP_1) | instid1(VALU_DEP_3)
	v_fma_f64 v[168:169], v[164:165], v[64:65], -v[42:43]
	v_mul_f64 v[42:43], v[164:165], v[66:67]
	v_fma_f64 v[16:17], v[62:63], v[56:57], v[16:17]
	global_load_b128 v[60:63], v[40:41], off offset:752
	v_fma_f64 v[164:165], v[166:167], v[64:65], v[42:43]
	v_add_f64 v[236:237], v[18:19], v[168:169]
	v_add_f64 v[18:19], v[18:19], -v[168:169]
	s_delay_alu instid0(VALU_DEP_3) | instskip(SKIP_3) | instid1(VALU_DEP_1)
	v_add_f64 v[244:245], v[16:17], v[164:165]
	v_add_f64 v[16:17], v[16:17], -v[164:165]
	s_waitcnt vmcnt(0)
	v_mul_f64 v[20:21], v[70:71], v[62:63]
	v_fma_f64 v[22:23], v[68:69], v[60:61], -v[20:21]
	v_mul_f64 v[20:21], v[68:69], v[62:63]
	s_delay_alu instid0(VALU_DEP_1) | instskip(SKIP_3) | instid1(VALU_DEP_1)
	v_fma_f64 v[20:21], v[70:71], v[60:61], v[20:21]
	global_load_b128 v[68:71], v[40:41], off offset:800
	s_waitcnt vmcnt(0)
	v_mul_f64 v[42:43], v[74:75], v[70:71]
	v_fma_f64 v[170:171], v[72:73], v[68:69], -v[42:43]
	v_mul_f64 v[42:43], v[72:73], v[70:71]
	s_delay_alu instid0(VALU_DEP_2) | instskip(NEXT) | instid1(VALU_DEP_2)
	v_add_f64 v[238:239], v[22:23], v[170:171]
	v_fma_f64 v[166:167], v[74:75], v[68:69], v[42:43]
	global_load_b128 v[72:75], v[40:41], off offset:768
	v_add_f64 v[22:23], v[22:23], -v[170:171]
	v_add_f64 v[214:215], v[238:239], v[236:237]
	v_add_f64 v[246:247], v[20:21], v[166:167]
	v_add_f64 v[20:21], v[20:21], -v[166:167]
	s_waitcnt vmcnt(0)
	v_mul_f64 v[42:43], v[78:79], v[74:75]
	s_delay_alu instid0(VALU_DEP_1) | instskip(SKIP_1) | instid1(VALU_DEP_1)
	v_fma_f64 v[174:175], v[76:77], v[72:73], -v[42:43]
	v_mul_f64 v[42:43], v[76:77], v[74:75]
	v_fma_f64 v[172:173], v[78:79], v[72:73], v[42:43]
	global_load_b128 v[76:79], v[40:41], off offset:784
	v_add_f64 v[42:43], v[190:191], v[198:199]
	v_add_f64 v[190:191], v[190:191], -v[198:199]
	v_add_f64 v[198:199], v[208:209], -v[206:207]
	s_waitcnt vmcnt(0)
	s_barrier
	buffer_gl0_inv
	v_mul_f64 v[40:41], v[162:163], v[78:79]
	s_delay_alu instid0(VALU_DEP_1) | instskip(SKIP_1) | instid1(VALU_DEP_2)
	v_fma_f64 v[176:177], v[160:161], v[76:77], -v[40:41]
	v_mul_f64 v[40:41], v[160:161], v[78:79]
	v_add_f64 v[240:241], v[174:175], v[176:177]
	s_delay_alu instid0(VALU_DEP_2)
	v_fma_f64 v[160:161], v[162:163], v[76:77], v[40:41]
	v_add_f64 v[40:41], v[186:187], v[194:195]
	v_add_f64 v[162:163], v[32:33], v[36:37]
	v_add_f64 v[32:33], v[36:37], -v[32:33]
	v_add_f64 v[36:37], v[192:193], -v[200:201]
	;; [unrolled: 1-line block ×4, first 2 shown]
	v_add_f64 v[242:243], v[240:241], v[214:215]
	v_add_f64 v[249:250], v[172:173], v[160:161]
	;; [unrolled: 1-line block ×4, first 2 shown]
	v_add_f64 v[188:189], v[32:33], -v[190:191]
	v_add_f64 v[196:197], v[42:43], -v[40:41]
	;; [unrolled: 1-line block ×3, first 2 shown]
	v_add_f64 v[186:187], v[32:33], v[190:191]
	v_add_f64 v[208:209], v[190:191], -v[194:195]
	v_add_f64 v[190:191], v[34:35], -v[36:37]
	v_add_f64 v[192:193], v[34:35], v[36:37]
	v_add_f64 v[40:41], v[40:41], -v[162:163]
	v_add_f64 v[36:37], v[36:37], -v[38:39]
	;; [unrolled: 1-line block ×4, first 2 shown]
	v_add_f64 v[148:149], v[148:149], v[242:243]
	v_add_f64 v[204:205], v[162:163], v[204:205]
	;; [unrolled: 1-line block ×3, first 2 shown]
	v_mul_f64 v[214:215], v[188:189], s[18:19]
	v_add_f64 v[162:163], v[206:207], -v[210:211]
	v_mul_f64 v[188:189], v[200:201], s[10:11]
	v_add_f64 v[222:223], v[186:187], v[194:195]
	v_mul_f64 v[186:187], v[42:43], s[10:11]
	v_mul_f64 v[220:221], v[190:191], s[18:19]
	v_add_f64 v[253:254], v[192:193], v[38:39]
	v_mul_f64 v[38:39], v[208:209], s[12:13]
	v_mul_f64 v[40:41], v[40:41], s[24:25]
	v_add_f64 v[156:157], v[156:157], v[204:205]
	v_add_f64 v[150:151], v[150:151], v[251:252]
	v_fma_f64 v[190:191], v[208:209], s[12:13], -v[214:215]
	v_mul_f64 v[162:163], v[162:163], s[24:25]
	v_fma_f64 v[188:189], v[198:199], s[16:17], -v[188:189]
	v_fma_f64 v[186:187], v[196:197], s[16:17], -v[186:187]
	;; [unrolled: 1-line block ×4, first 2 shown]
	v_fma_f64 v[32:33], v[32:33], s[22:23], v[214:215]
	v_fma_f64 v[44:45], v[204:205], s[14:15], v[156:157]
	;; [unrolled: 1-line block ×3, first 2 shown]
	v_fma_f64 v[190:191], v[36:37], s[12:13], -v[220:221]
	v_mul_f64 v[36:37], v[36:37], s[12:13]
	v_fma_f64 v[196:197], v[198:199], s[26:27], -v[162:163]
	v_add_f64 v[212:213], v[188:189], v[46:47]
	v_add_f64 v[198:199], v[10:11], -v[14:15]
	v_fma_f64 v[38:39], v[222:223], s[20:21], v[38:39]
	v_fma_f64 v[32:33], v[222:223], s[20:21], v[32:33]
	v_add_f64 v[204:205], v[186:187], v[44:45]
	v_add_f64 v[194:195], v[194:195], v[44:45]
	v_fma_f64 v[190:191], v[253:254], s[20:21], v[190:191]
	v_fma_f64 v[36:37], v[34:35], s[28:29], -v[36:37]
	v_add_f64 v[196:197], v[196:197], v[46:47]
	v_fma_f64 v[34:35], v[34:35], s[22:23], v[220:221]
	v_add_f64 v[188:189], v[192:193], v[212:213]
	v_add_f64 v[192:193], v[212:213], -v[192:193]
	v_add_f64 v[186:187], v[204:205], -v[190:191]
	v_fma_f64 v[36:37], v[253:254], s[20:21], v[36:37]
	v_add_f64 v[206:207], v[196:197], -v[38:39]
	v_add_f64 v[210:211], v[38:39], v[196:197]
	v_fma_f64 v[38:39], v[200:201], s[10:11], v[162:163]
	v_add_f64 v[190:191], v[190:191], v[204:205]
	v_fma_f64 v[34:35], v[253:254], s[20:21], v[34:35]
	v_mul_f64 v[162:163], v[2:3], s[18:19]
	v_add_f64 v[196:197], v[8:9], -v[12:13]
	v_add_f64 v[204:205], v[36:37], v[194:195]
	v_add_f64 v[208:209], v[194:195], -v[36:37]
	v_fma_f64 v[36:37], v[42:43], s[10:11], v[40:41]
	v_add_f64 v[38:39], v[38:39], v[46:47]
	v_add_f64 v[40:41], v[4:5], -v[8:9]
	v_add_f64 v[4:5], v[14:15], -v[6:7]
	v_add_f64 v[42:43], v[14:15], v[6:7]
	v_add_f64 v[46:47], v[0:1], v[8:9]
	;; [unrolled: 1-line block ×3, first 2 shown]
	v_add_f64 v[214:215], v[38:39], -v[32:33]
	v_add_f64 v[222:223], v[32:33], v[38:39]
	v_add_f64 v[38:39], v[232:233], -v[230:231]
	v_add_f64 v[32:33], v[218:219], -v[216:217]
	;; [unrolled: 1-line block ×3, first 2 shown]
	v_mul_f64 v[178:179], v[4:5], s[18:19]
	v_fma_f64 v[4:5], v[40:41], s[12:13], -v[162:163]
	v_add_f64 v[42:43], v[42:43], v[10:11]
	v_mul_f64 v[8:9], v[40:41], s[12:13]
	v_add_f64 v[212:213], v[34:35], v[36:37]
	v_add_f64 v[220:221], v[36:37], -v[34:35]
	v_add_f64 v[34:35], v[224:225], -v[218:219]
	;; [unrolled: 1-line block ×3, first 2 shown]
	v_mul_f64 v[2:3], v[38:39], s[10:11]
	v_mul_f64 v[10:11], v[44:45], s[12:13]
	v_fma_f64 v[6:7], v[46:47], s[20:21], v[4:5]
	v_fma_f64 v[4:5], v[44:45], s[12:13], -v[178:179]
	v_fma_f64 v[8:9], v[196:197], s[28:29], -v[8:9]
	v_mul_f64 v[0:1], v[34:35], s[10:11]
	v_fma_f64 v[2:3], v[36:37], s[16:17], -v[2:3]
	v_fma_f64 v[10:11], v[198:199], s[28:29], -v[10:11]
	v_fma_f64 v[4:5], v[42:43], s[20:21], v[4:5]
	s_delay_alu instid0(VALU_DEP_4) | instskip(NEXT) | instid1(VALU_DEP_4)
	v_fma_f64 v[0:1], v[32:33], s[16:17], -v[0:1]
	v_add_f64 v[194:195], v[2:3], v[182:183]
	s_delay_alu instid0(VALU_DEP_2) | instskip(NEXT) | instid1(VALU_DEP_2)
	v_add_f64 v[184:185], v[0:1], v[180:181]
	v_add_f64 v[2:3], v[6:7], v[194:195]
	v_add_f64 v[6:7], v[194:195], -v[6:7]
	v_add_f64 v[194:195], v[228:229], -v[232:233]
	s_delay_alu instid0(VALU_DEP_4) | instskip(SKIP_2) | instid1(VALU_DEP_4)
	v_add_f64 v[0:1], v[184:185], -v[4:5]
	v_add_f64 v[4:5], v[4:5], v[184:185]
	v_add_f64 v[184:185], v[216:217], -v[224:225]
	v_mul_f64 v[44:45], v[194:195], s[24:25]
	v_fma_f64 v[194:195], v[251:252], s[14:15], v[150:151]
	s_delay_alu instid0(VALU_DEP_3) | instskip(SKIP_1) | instid1(VALU_DEP_4)
	v_mul_f64 v[40:41], v[184:185], s[24:25]
	v_fma_f64 v[184:185], v[242:243], s[14:15], v[148:149]
	v_fma_f64 v[14:15], v[36:37], s[26:27], -v[44:45]
	v_fma_f64 v[36:37], v[42:43], s[20:21], v[10:11]
	v_fma_f64 v[38:39], v[38:39], s[10:11], v[44:45]
	v_fma_f64 v[12:13], v[32:33], s[26:27], -v[40:41]
	v_fma_f64 v[32:33], v[46:47], s[20:21], v[8:9]
	v_add_f64 v[14:15], v[14:15], v[182:183]
	v_fma_f64 v[34:35], v[34:35], s[10:11], v[40:41]
	v_add_f64 v[38:39], v[38:39], v[182:183]
	v_add_f64 v[40:41], v[246:247], -v[244:245]
	v_add_f64 v[12:13], v[12:13], v[180:181]
	v_add_f64 v[10:11], v[14:15], -v[32:33]
	v_add_f64 v[14:15], v[32:33], v[14:15]
	v_fma_f64 v[32:33], v[196:197], s[22:23], v[162:163]
	v_add_f64 v[34:35], v[34:35], v[180:181]
	v_add_f64 v[8:9], v[36:37], v[12:13]
	v_add_f64 v[12:13], v[12:13], -v[36:37]
	v_fma_f64 v[36:37], v[198:199], s[22:23], v[178:179]
	v_fma_f64 v[32:33], v[46:47], s[20:21], v[32:33]
	s_delay_alu instid0(VALU_DEP_2) | instskip(SKIP_1) | instid1(VALU_DEP_3)
	v_fma_f64 v[36:37], v[42:43], s[20:21], v[36:37]
	v_add_f64 v[42:43], v[249:250], -v[246:247]
	v_add_f64 v[182:183], v[38:39], -v[32:33]
	v_add_f64 v[226:227], v[32:33], v[38:39]
	v_add_f64 v[32:33], v[176:177], -v[174:175]
	v_add_f64 v[38:39], v[240:241], -v[238:239]
	v_add_f64 v[180:181], v[36:37], v[34:35]
	v_add_f64 v[224:225], v[34:35], -v[36:37]
	v_add_f64 v[34:35], v[160:161], -v[172:173]
	;; [unrolled: 1-line block ×4, first 2 shown]
	v_add_f64 v[44:45], v[32:33], v[22:23]
	v_add_f64 v[22:23], v[22:23], -v[18:19]
	v_mul_f64 v[164:165], v[38:39], s[10:11]
	v_mul_f64 v[166:167], v[42:43], s[10:11]
	v_add_f64 v[162:163], v[34:35], -v[20:21]
	v_add_f64 v[160:161], v[34:35], v[20:21]
	v_mul_f64 v[46:47], v[46:47], s[18:19]
	v_add_f64 v[20:21], v[20:21], -v[16:17]
	v_add_f64 v[44:45], v[44:45], v[18:19]
	v_fma_f64 v[164:165], v[36:37], s[16:17], -v[164:165]
	v_fma_f64 v[166:167], v[40:41], s[16:17], -v[166:167]
	v_add_f64 v[18:19], v[18:19], -v[32:33]
	v_mul_f64 v[162:163], v[162:163], s[18:19]
	v_add_f64 v[160:161], v[160:161], v[16:17]
	v_fma_f64 v[168:169], v[22:23], s[12:13], -v[46:47]
	v_add_f64 v[16:17], v[16:17], -v[34:35]
	v_mul_f64 v[22:23], v[22:23], s[12:13]
	v_add_f64 v[172:173], v[164:165], v[184:185]
	v_add_f64 v[174:175], v[166:167], v[194:195]
	v_fma_f64 v[170:171], v[44:45], s[20:21], v[168:169]
	v_fma_f64 v[168:169], v[20:21], s[12:13], -v[162:163]
	v_mul_f64 v[20:21], v[20:21], s[12:13]
	v_fma_f64 v[22:23], v[18:19], s[28:29], -v[22:23]
	v_fma_f64 v[18:19], v[18:19], s[22:23], v[46:47]
	v_add_f64 v[166:167], v[170:171], v[174:175]
	v_fma_f64 v[168:169], v[160:161], s[20:21], v[168:169]
	v_add_f64 v[170:171], v[174:175], -v[170:171]
	v_add_f64 v[174:175], v[244:245], -v[249:250]
	v_fma_f64 v[20:21], v[16:17], s[28:29], -v[20:21]
	v_fma_f64 v[22:23], v[44:45], s[20:21], v[22:23]
	v_fma_f64 v[16:17], v[16:17], s[22:23], v[162:163]
	;; [unrolled: 1-line block ×3, first 2 shown]
	v_add_f64 v[164:165], v[172:173], -v[168:169]
	v_add_f64 v[168:169], v[168:169], v[172:173]
	v_add_f64 v[172:173], v[236:237], -v[240:241]
	v_mul_f64 v[34:35], v[174:175], s[24:25]
	v_fma_f64 v[20:21], v[160:161], s[20:21], v[20:21]
	v_fma_f64 v[16:17], v[160:161], s[20:21], v[16:17]
	s_delay_alu instid0(VALU_DEP_4) | instskip(NEXT) | instid1(VALU_DEP_4)
	v_mul_f64 v[32:33], v[172:173], s[24:25]
	v_fma_f64 v[40:41], v[40:41], s[26:27], -v[34:35]
	s_delay_alu instid0(VALU_DEP_2) | instskip(NEXT) | instid1(VALU_DEP_2)
	v_fma_f64 v[36:37], v[36:37], s[26:27], -v[32:33]
	v_add_f64 v[40:41], v[40:41], v[194:195]
	s_delay_alu instid0(VALU_DEP_2) | instskip(NEXT) | instid1(VALU_DEP_2)
	v_add_f64 v[36:37], v[36:37], v[184:185]
	v_add_f64 v[174:175], v[40:41], -v[22:23]
	v_add_f64 v[178:179], v[22:23], v[40:41]
	v_fma_f64 v[22:23], v[42:43], s[10:11], v[34:35]
	s_delay_alu instid0(VALU_DEP_4) | instskip(SKIP_2) | instid1(VALU_DEP_4)
	v_add_f64 v[172:173], v[20:21], v[36:37]
	v_add_f64 v[176:177], v[36:37], -v[20:21]
	v_fma_f64 v[20:21], v[38:39], s[10:11], v[32:33]
	v_add_f64 v[22:23], v[22:23], v[194:195]
	s_delay_alu instid0(VALU_DEP_2) | instskip(NEXT) | instid1(VALU_DEP_2)
	v_add_f64 v[20:21], v[20:21], v[184:185]
	v_add_f64 v[218:219], v[22:23], -v[18:19]
	v_add_f64 v[198:199], v[18:19], v[22:23]
	s_delay_alu instid0(VALU_DEP_3) | instskip(SKIP_2) | instid1(VALU_DEP_1)
	v_add_f64 v[216:217], v[16:17], v[20:21]
	v_add_f64 v[196:197], v[20:21], -v[16:17]
	v_and_b32_e32 v16, 0xffff, v26
	v_mul_u32_u24_e32 v16, 0x150, v16
	s_delay_alu instid0(VALU_DEP_1)
	v_add_lshl_u32 v28, v16, v28, 4
	v_and_b32_e32 v16, 0xffff, v31
	ds_store_b128 v28, v[156:159]
	ds_store_b128 v28, v[212:215] offset:768
	ds_store_b128 v28, v[204:207] offset:1536
	;; [unrolled: 1-line block ×6, first 2 shown]
	v_mul_u32_u24_e32 v16, 0x150, v16
	s_delay_alu instid0(VALU_DEP_1)
	v_add_lshl_u32 v26, v16, v202, 4
	ds_store_b128 v26, v[152:155]
	ds_store_b128 v26, v[180:183] offset:768
	ds_store_b128 v26, v[8:11] offset:1536
	;; [unrolled: 1-line block ×6, first 2 shown]
	v_and_b32_e32 v0, 0xffff, v203
	scratch_store_b32 off, v0, off offset:368 ; 4-byte Folded Spill
	s_and_saveexec_b32 s1, s0
	s_cbranch_execz .LBB0_23
; %bb.22:
	scratch_load_b32 v0, off, off offset:368 ; 4-byte Folded Reload
	s_waitcnt vmcnt(0)
	v_lshlrev_b32_e32 v0, 4, v0
	ds_store_b128 v0, v[148:151] offset:21504
	ds_store_b128 v0, v[216:219] offset:22272
	;; [unrolled: 1-line block ×7, first 2 shown]
.LBB0_23:
	s_or_b32 exec_lo, exec_lo, s1
	v_lshlrev_b32_e32 v0, 6, v25
	s_waitcnt lgkmcnt(0)
	s_waitcnt_vscnt null, 0x0
	s_barrier
	buffer_gl0_inv
	s_mov_b32 s12, 0x134454ff
	v_add_co_u32 v2, s1, s2, v0
	s_delay_alu instid0(VALU_DEP_1) | instskip(SKIP_1) | instid1(VALU_DEP_2)
	v_add_co_ci_u32_e64 v3, null, s3, 0, s1
	s_mov_b32 s13, 0x3fee6f0e
	v_add_co_u32 v0, s1, 0x1000, v2
	s_delay_alu instid0(VALU_DEP_1) | instskip(SKIP_1) | instid1(VALU_DEP_1)
	v_add_co_ci_u32_e64 v1, s1, 0, v3, s1
	v_add_co_u32 v8, s1, 0x14e0, v2
	v_add_co_ci_u32_e64 v9, s1, 0, v3, s1
	global_load_b128 v[148:151], v[0:1], off offset:1248
	s_mov_b32 s15, 0xbfee6f0e
	s_clause 0x1
	global_load_b128 v[156:159], v[8:9], off offset:16
	global_load_b128 v[152:155], v[8:9], off offset:32
	ds_load_b128 v[0:3], v24 offset:5376
	ds_load_b128 v[4:7], v24 offset:10752
	global_load_b128 v[160:163], v[8:9], off offset:48
	s_mov_b32 s14, s12
	s_mov_b32 s11, 0xbfe2cf23
	s_mov_b32 s16, 0x372fe950
	s_mov_b32 s17, 0x3fd3c6ef
	ds_load_b128 v[232:235], v24
	ds_load_b128 v[224:227], v24 offset:25088
	s_waitcnt vmcnt(3) lgkmcnt(3)
	v_mul_f64 v[10:11], v[2:3], v[150:151]
	v_mul_f64 v[12:13], v[0:1], v[150:151]
	s_waitcnt vmcnt(2) lgkmcnt(2)
	v_mul_f64 v[14:15], v[6:7], v[158:159]
	v_mul_f64 v[16:17], v[4:5], v[158:159]
	s_delay_alu instid0(VALU_DEP_4) | instskip(NEXT) | instid1(VALU_DEP_4)
	v_fma_f64 v[31:32], v[0:1], v[148:149], -v[10:11]
	v_fma_f64 v[33:34], v[2:3], v[148:149], v[12:13]
	ds_load_b128 v[0:3], v24 offset:16128
	v_fma_f64 v[35:36], v[4:5], v[156:157], -v[14:15]
	v_fma_f64 v[37:38], v[6:7], v[156:157], v[16:17]
	ds_load_b128 v[10:13], v24 offset:19712
	s_waitcnt vmcnt(1) lgkmcnt(1)
	v_mul_f64 v[4:5], v[2:3], v[154:155]
	v_mul_f64 v[6:7], v[0:1], v[154:155]
	s_delay_alu instid0(VALU_DEP_2) | instskip(NEXT) | instid1(VALU_DEP_2)
	v_fma_f64 v[39:40], v[0:1], v[152:153], -v[4:5]
	v_fma_f64 v[41:42], v[2:3], v[152:153], v[6:7]
	ds_load_b128 v[0:3], v24 offset:21504
	s_waitcnt vmcnt(0) lgkmcnt(0)
	v_mul_f64 v[4:5], v[2:3], v[162:163]
	v_add_f64 v[249:250], v[35:36], -v[39:40]
	v_add_f64 v[240:241], v[37:38], -v[41:42]
	s_delay_alu instid0(VALU_DEP_3) | instskip(SKIP_1) | instid1(VALU_DEP_2)
	v_fma_f64 v[43:44], v[0:1], v[160:161], -v[4:5]
	v_mul_f64 v[0:1], v[0:1], v[162:163]
	v_add_f64 v[242:243], v[31:32], -v[43:44]
	s_delay_alu instid0(VALU_DEP_2) | instskip(SKIP_1) | instid1(VALU_DEP_1)
	v_fma_f64 v[45:46], v[2:3], v[160:161], v[0:1]
	v_lshlrev_b32_e32 v0, 6, v30
	v_add_co_u32 v6, s1, s2, v0
	s_delay_alu instid0(VALU_DEP_1) | instskip(NEXT) | instid1(VALU_DEP_2)
	v_add_co_ci_u32_e64 v7, null, s3, 0, s1
	v_add_co_u32 v0, s1, 0x1000, v6
	s_delay_alu instid0(VALU_DEP_1)
	v_add_co_ci_u32_e64 v1, s1, 0, v7, s1
	global_load_b128 v[180:183], v[0:1], off offset:1248
	ds_load_b128 v[0:3], v24 offset:7168
	v_add_f64 v[238:239], v[33:34], -v[45:46]
	s_waitcnt vmcnt(0) lgkmcnt(0)
	v_mul_f64 v[4:5], v[2:3], v[182:183]
	s_delay_alu instid0(VALU_DEP_1) | instskip(SKIP_1) | instid1(VALU_DEP_1)
	v_fma_f64 v[18:19], v[0:1], v[180:181], -v[4:5]
	v_add_co_u32 v4, s1, 0x14e0, v6
	v_add_co_ci_u32_e64 v5, s1, 0, v7, s1
	v_mul_f64 v[0:1], v[0:1], v[182:183]
	s_clause 0x2
	global_load_b128 v[184:187], v[4:5], off offset:16
	global_load_b128 v[188:191], v[4:5], off offset:32
	;; [unrolled: 1-line block ×3, first 2 shown]
	v_fma_f64 v[16:17], v[2:3], v[180:181], v[0:1]
	ds_load_b128 v[0:3], v24 offset:12544
	s_waitcnt vmcnt(2) lgkmcnt(0)
	v_mul_f64 v[6:7], v[2:3], v[186:187]
	s_delay_alu instid0(VALU_DEP_1) | instskip(SKIP_1) | instid1(VALU_DEP_2)
	v_fma_f64 v[222:223], v[0:1], v[184:185], -v[6:7]
	v_mul_f64 v[0:1], v[0:1], v[186:187]
	v_add_f64 v[47:48], v[222:223], -v[18:19]
	s_delay_alu instid0(VALU_DEP_2) | instskip(SKIP_3) | instid1(VALU_DEP_1)
	v_fma_f64 v[20:21], v[2:3], v[184:185], v[0:1]
	ds_load_b128 v[0:3], v24 offset:17920
	s_waitcnt vmcnt(1) lgkmcnt(0)
	v_mul_f64 v[6:7], v[2:3], v[190:191]
	v_fma_f64 v[220:221], v[0:1], v[188:189], -v[6:7]
	v_mul_f64 v[0:1], v[0:1], v[190:191]
	s_delay_alu instid0(VALU_DEP_2) | instskip(NEXT) | instid1(VALU_DEP_2)
	v_add_f64 v[253:254], v[222:223], -v[220:221]
	v_fma_f64 v[22:23], v[2:3], v[188:189], v[0:1]
	ds_load_b128 v[0:3], v24 offset:23296
	s_waitcnt vmcnt(0) lgkmcnt(0)
	v_mul_f64 v[4:5], v[2:3], v[194:195]
	s_delay_alu instid0(VALU_DEP_1)
	v_fma_f64 v[244:245], v[0:1], v[192:193], -v[4:5]
	v_mul_f64 v[0:1], v[0:1], v[194:195]
	ds_load_b128 v[4:7], v24 offset:8960
	v_fma_f64 v[246:247], v[2:3], v[192:193], v[0:1]
	v_lshlrev_b32_e32 v0, 6, v29
	v_add_f64 v[29:30], v[31:32], -v[35:36]
	s_delay_alu instid0(VALU_DEP_2) | instskip(NEXT) | instid1(VALU_DEP_1)
	v_add_co_u32 v8, s1, s2, v0
	v_add_co_ci_u32_e64 v9, null, s3, 0, s1
	s_mov_b32 s2, 0x4755a5e
	s_delay_alu instid0(VALU_DEP_2) | instskip(NEXT) | instid1(VALU_DEP_1)
	v_add_co_u32 v0, s1, 0x1000, v8
	v_add_co_ci_u32_e64 v1, s1, 0, v9, s1
	v_add_co_u32 v14, s1, 0x14e0, v8
	s_delay_alu instid0(VALU_DEP_1)
	v_add_co_ci_u32_e64 v15, s1, 0, v9, s1
	global_load_b128 v[200:203], v[0:1], off offset:1248
	s_mov_b32 s3, 0x3fe2cf23
	s_mov_b32 s10, s2
	s_clause 0x2
	global_load_b128 v[204:207], v[14:15], off offset:16
	global_load_b128 v[208:211], v[14:15], off offset:32
	;; [unrolled: 1-line block ×3, first 2 shown]
	s_waitcnt vmcnt(3) lgkmcnt(0)
	v_mul_f64 v[0:1], v[6:7], v[202:203]
	s_waitcnt vmcnt(0)
	v_mul_f64 v[14:15], v[224:225], v[214:215]
	s_delay_alu instid0(VALU_DEP_2) | instskip(SKIP_1) | instid1(VALU_DEP_3)
	v_fma_f64 v[2:3], v[4:5], v[200:201], -v[0:1]
	v_mul_f64 v[0:1], v[4:5], v[202:203]
	v_fma_f64 v[14:15], v[226:227], v[212:213], v[14:15]
	s_delay_alu instid0(VALU_DEP_2) | instskip(SKIP_3) | instid1(VALU_DEP_1)
	v_fma_f64 v[0:1], v[6:7], v[200:201], v[0:1]
	ds_load_b128 v[6:9], v24 offset:14336
	s_waitcnt lgkmcnt(0)
	v_mul_f64 v[4:5], v[8:9], v[206:207]
	v_fma_f64 v[4:5], v[6:7], v[204:205], -v[4:5]
	v_mul_f64 v[6:7], v[6:7], v[206:207]
	s_delay_alu instid0(VALU_DEP_1) | instskip(SKIP_1) | instid1(VALU_DEP_1)
	v_fma_f64 v[6:7], v[8:9], v[204:205], v[6:7]
	v_mul_f64 v[8:9], v[12:13], v[210:211]
	v_fma_f64 v[8:9], v[10:11], v[208:209], -v[8:9]
	v_mul_f64 v[10:11], v[10:11], v[210:211]
	s_delay_alu instid0(VALU_DEP_1) | instskip(SKIP_2) | instid1(VALU_DEP_2)
	v_fma_f64 v[10:11], v[12:13], v[208:209], v[10:11]
	v_mul_f64 v[12:13], v[226:227], v[214:215]
	v_add_f64 v[226:227], v[45:46], -v[41:42]
	v_fma_f64 v[12:13], v[224:225], v[212:213], -v[12:13]
	v_add_f64 v[224:225], v[43:44], -v[39:40]
	s_delay_alu instid0(VALU_DEP_2) | instskip(NEXT) | instid1(VALU_DEP_2)
	v_add_f64 v[51:52], v[2:3], -v[12:13]
	v_add_f64 v[29:30], v[29:30], v[224:225]
	v_add_f64 v[224:225], v[33:34], -v[37:38]
	s_delay_alu instid0(VALU_DEP_1) | instskip(SKIP_1) | instid1(VALU_DEP_1)
	v_add_f64 v[230:231], v[224:225], v[226:227]
	v_add_f64 v[224:225], v[35:36], v[39:40]
	v_fma_f64 v[228:229], v[224:225], -0.5, v[232:233]
	v_add_f64 v[224:225], v[37:38], v[41:42]
	s_delay_alu instid0(VALU_DEP_1) | instskip(NEXT) | instid1(VALU_DEP_3)
	v_fma_f64 v[236:237], v[224:225], -0.5, v[234:235]
	v_fma_f64 v[224:225], v[238:239], s[12:13], v[228:229]
	v_fma_f64 v[228:229], v[238:239], s[14:15], v[228:229]
	s_delay_alu instid0(VALU_DEP_3) | instskip(SKIP_1) | instid1(VALU_DEP_4)
	v_fma_f64 v[226:227], v[242:243], s[14:15], v[236:237]
	v_fma_f64 v[236:237], v[242:243], s[12:13], v[236:237]
	;; [unrolled: 1-line block ×3, first 2 shown]
	s_delay_alu instid0(VALU_DEP_4) | instskip(NEXT) | instid1(VALU_DEP_4)
	v_fma_f64 v[228:229], v[240:241], s[10:11], v[228:229]
	v_fma_f64 v[226:227], v[249:250], s[10:11], v[226:227]
	s_delay_alu instid0(VALU_DEP_4) | instskip(NEXT) | instid1(VALU_DEP_4)
	v_fma_f64 v[236:237], v[249:250], s[2:3], v[236:237]
	v_fma_f64 v[224:225], v[29:30], s[16:17], v[224:225]
	s_delay_alu instid0(VALU_DEP_4) | instskip(SKIP_4) | instid1(VALU_DEP_4)
	v_fma_f64 v[228:229], v[29:30], s[16:17], v[228:229]
	v_add_f64 v[29:30], v[31:32], v[43:44]
	v_fma_f64 v[226:227], v[230:231], s[16:17], v[226:227]
	v_fma_f64 v[230:231], v[230:231], s[16:17], v[236:237]
	v_add_f64 v[236:237], v[33:34], v[45:46]
	v_fma_f64 v[29:30], v[29:30], -0.5, v[232:233]
	v_add_f64 v[232:233], v[232:233], v[31:32]
	v_add_f64 v[31:32], v[35:36], -v[31:32]
	s_delay_alu instid0(VALU_DEP_4) | instskip(SKIP_3) | instid1(VALU_DEP_3)
	v_fma_f64 v[236:237], v[236:237], -0.5, v[234:235]
	v_add_f64 v[234:235], v[234:235], v[33:34]
	v_add_f64 v[33:34], v[37:38], -v[33:34]
	v_add_f64 v[35:36], v[232:233], v[35:36]
	v_add_f64 v[232:233], v[234:235], v[37:38]
	s_delay_alu instid0(VALU_DEP_2) | instskip(SKIP_1) | instid1(VALU_DEP_3)
	v_add_f64 v[35:36], v[35:36], v[39:40]
	v_add_f64 v[39:40], v[39:40], -v[43:44]
	v_add_f64 v[37:38], v[232:233], v[41:42]
	s_delay_alu instid0(VALU_DEP_3)
	v_add_f64 v[232:233], v[35:36], v[43:44]
	v_add_f64 v[35:36], v[41:42], -v[45:46]
	v_fma_f64 v[41:42], v[249:250], s[12:13], v[236:237]
	v_fma_f64 v[43:44], v[249:250], s[14:15], v[236:237]
	v_add_f64 v[31:32], v[31:32], v[39:40]
	ds_load_b128 v[249:252], v24 offset:1792
	v_add_f64 v[234:235], v[37:38], v[45:46]
	v_fma_f64 v[37:38], v[240:241], s[14:15], v[29:30]
	v_fma_f64 v[29:30], v[240:241], s[12:13], v[29:30]
	v_add_f64 v[33:34], v[33:34], v[35:36]
	v_add_f64 v[45:46], v[18:19], -v[244:245]
	v_fma_f64 v[39:40], v[242:243], s[2:3], v[43:44]
	v_add_f64 v[43:44], v[20:21], -v[22:23]
	v_fma_f64 v[35:36], v[238:239], s[2:3], v[37:38]
	v_fma_f64 v[29:30], v[238:239], s[10:11], v[29:30]
	;; [unrolled: 1-line block ×3, first 2 shown]
	v_add_f64 v[41:42], v[16:17], -v[246:247]
	v_fma_f64 v[242:243], v[33:34], s[16:17], v[39:40]
	v_fma_f64 v[236:237], v[31:32], s[16:17], v[35:36]
	;; [unrolled: 1-line block ×3, first 2 shown]
	v_add_f64 v[29:30], v[18:19], -v[222:223]
	v_add_f64 v[31:32], v[244:245], -v[220:221]
	v_fma_f64 v[238:239], v[33:34], s[16:17], v[37:38]
	s_delay_alu instid0(VALU_DEP_2) | instskip(SKIP_2) | instid1(VALU_DEP_1)
	v_add_f64 v[33:34], v[29:30], v[31:32]
	v_add_f64 v[29:30], v[16:17], -v[20:21]
	v_add_f64 v[31:32], v[246:247], -v[22:23]
	v_add_f64 v[35:36], v[29:30], v[31:32]
	v_add_f64 v[29:30], v[222:223], v[220:221]
	s_waitcnt lgkmcnt(0)
	s_delay_alu instid0(VALU_DEP_1) | instskip(SKIP_1) | instid1(VALU_DEP_1)
	v_fma_f64 v[37:38], v[29:30], -0.5, v[249:250]
	v_add_f64 v[29:30], v[20:21], v[22:23]
	v_fma_f64 v[39:40], v[29:30], -0.5, v[251:252]
	s_delay_alu instid0(VALU_DEP_3) | instskip(SKIP_1) | instid1(VALU_DEP_3)
	v_fma_f64 v[29:30], v[41:42], s[12:13], v[37:38]
	v_fma_f64 v[37:38], v[41:42], s[14:15], v[37:38]
	;; [unrolled: 1-line block ×4, first 2 shown]
	s_delay_alu instid0(VALU_DEP_4) | instskip(NEXT) | instid1(VALU_DEP_4)
	v_fma_f64 v[29:30], v[43:44], s[2:3], v[29:30]
	v_fma_f64 v[37:38], v[43:44], s[10:11], v[37:38]
	s_delay_alu instid0(VALU_DEP_4) | instskip(NEXT) | instid1(VALU_DEP_4)
	v_fma_f64 v[31:32], v[253:254], s[10:11], v[31:32]
	v_fma_f64 v[39:40], v[253:254], s[2:3], v[39:40]
	;; [unrolled: 3-line block ×3, first 2 shown]
	v_add_f64 v[37:38], v[18:19], v[244:245]
	v_fma_f64 v[31:32], v[35:36], s[16:17], v[31:32]
	v_fma_f64 v[35:36], v[35:36], s[16:17], v[39:40]
	v_add_f64 v[39:40], v[16:17], v[246:247]
	s_delay_alu instid0(VALU_DEP_4) | instskip(SKIP_1) | instid1(VALU_DEP_3)
	v_fma_f64 v[37:38], v[37:38], -0.5, v[249:250]
	v_add_f64 v[249:250], v[249:250], v[18:19]
	v_fma_f64 v[39:40], v[39:40], -0.5, v[251:252]
	v_add_f64 v[251:252], v[251:252], v[16:17]
	s_delay_alu instid0(VALU_DEP_3) | instskip(NEXT) | instid1(VALU_DEP_2)
	v_add_f64 v[18:19], v[249:250], v[222:223]
	v_add_f64 v[49:50], v[251:252], v[20:21]
	v_add_f64 v[20:21], v[20:21], -v[16:17]
	s_delay_alu instid0(VALU_DEP_3) | instskip(NEXT) | instid1(VALU_DEP_3)
	v_add_f64 v[16:17], v[18:19], v[220:221]
	v_add_f64 v[18:19], v[49:50], v[22:23]
	v_add_f64 v[49:50], v[220:221], -v[244:245]
	v_add_f64 v[22:23], v[22:23], -v[246:247]
	v_fma_f64 v[220:221], v[43:44], s[14:15], v[37:38]
	v_fma_f64 v[37:38], v[43:44], s[12:13], v[37:38]
	;; [unrolled: 1-line block ×4, first 2 shown]
	v_add_f64 v[16:17], v[16:17], v[244:245]
	v_add_f64 v[253:254], v[4:5], -v[8:9]
	v_add_f64 v[18:19], v[18:19], v[246:247]
	v_add_f64 v[47:48], v[47:48], v[49:50]
	;; [unrolled: 1-line block ×3, first 2 shown]
	v_fma_f64 v[20:21], v[41:42], s[2:3], v[220:221]
	v_fma_f64 v[37:38], v[41:42], s[10:11], v[37:38]
	v_add_f64 v[41:42], v[10:11], -v[14:15]
	v_fma_f64 v[39:40], v[45:46], s[2:3], v[39:40]
	v_fma_f64 v[22:23], v[45:46], s[10:11], v[43:44]
	v_add_f64 v[43:44], v[0:1], v[14:15]
	ds_load_b128 v[220:223], v24 offset:3584
	v_add_f64 v[45:46], v[6:7], -v[10:11]
	v_fma_f64 v[20:21], v[47:48], s[16:17], v[20:21]
	v_fma_f64 v[244:245], v[47:48], s[16:17], v[37:38]
	v_add_f64 v[37:38], v[4:5], -v[2:3]
	v_fma_f64 v[246:247], v[49:50], s[16:17], v[39:40]
	v_add_f64 v[39:40], v[8:9], -v[12:13]
	s_waitcnt lgkmcnt(0)
	v_fma_f64 v[43:44], v[43:44], -0.5, v[222:223]
	v_fma_f64 v[22:23], v[49:50], s[16:17], v[22:23]
	v_add_f64 v[47:48], v[0:1], -v[14:15]
	s_delay_alu instid0(VALU_DEP_4) | instskip(SKIP_3) | instid1(VALU_DEP_3)
	v_add_f64 v[37:38], v[37:38], v[39:40]
	v_add_f64 v[39:40], v[6:7], -v[0:1]
	v_fma_f64 v[53:54], v[253:254], s[12:13], v[43:44]
	v_fma_f64 v[43:44], v[253:254], s[14:15], v[43:44]
	v_add_f64 v[39:40], v[39:40], v[41:42]
	v_add_f64 v[41:42], v[2:3], v[12:13]
	s_delay_alu instid0(VALU_DEP_4) | instskip(NEXT) | instid1(VALU_DEP_4)
	v_fma_f64 v[53:54], v[51:52], s[10:11], v[53:54]
	v_fma_f64 v[43:44], v[51:52], s[2:3], v[43:44]
	s_delay_alu instid0(VALU_DEP_3) | instskip(NEXT) | instid1(VALU_DEP_3)
	v_fma_f64 v[41:42], v[41:42], -0.5, v[220:221]
	v_fma_f64 v[251:252], v[39:40], s[16:17], v[53:54]
	v_add_f64 v[53:54], v[222:223], v[0:1]
	s_delay_alu instid0(VALU_DEP_4) | instskip(SKIP_3) | instid1(VALU_DEP_3)
	v_fma_f64 v[39:40], v[39:40], s[16:17], v[43:44]
	v_add_f64 v[43:44], v[6:7], v[10:11]
	v_fma_f64 v[49:50], v[45:46], s[14:15], v[41:42]
	v_fma_f64 v[41:42], v[45:46], s[12:13], v[41:42]
	v_fma_f64 v[43:44], v[43:44], -0.5, v[222:223]
	s_delay_alu instid0(VALU_DEP_3) | instskip(NEXT) | instid1(VALU_DEP_3)
	v_fma_f64 v[49:50], v[47:48], s[2:3], v[49:50]
	v_fma_f64 v[41:42], v[47:48], s[10:11], v[41:42]
	s_delay_alu instid0(VALU_DEP_2) | instskip(NEXT) | instid1(VALU_DEP_2)
	v_fma_f64 v[249:250], v[37:38], s[16:17], v[49:50]
	v_fma_f64 v[37:38], v[37:38], s[16:17], v[41:42]
	v_add_f64 v[41:42], v[4:5], v[8:9]
	v_add_f64 v[49:50], v[220:221], v[2:3]
	s_delay_alu instid0(VALU_DEP_2) | instskip(SKIP_1) | instid1(VALU_DEP_3)
	v_fma_f64 v[41:42], v[41:42], -0.5, v[220:221]
	v_add_f64 v[220:221], v[2:3], -v[4:5]
	v_add_f64 v[2:3], v[49:50], v[4:5]
	v_add_f64 v[4:5], v[53:54], v[6:7]
	v_add_f64 v[6:7], v[0:1], -v[6:7]
	s_delay_alu instid0(VALU_DEP_3) | instskip(NEXT) | instid1(VALU_DEP_3)
	v_add_f64 v[0:1], v[2:3], v[8:9]
	v_add_f64 v[2:3], v[4:5], v[10:11]
	v_add_f64 v[4:5], v[12:13], -v[8:9]
	v_add_f64 v[8:9], v[14:15], -v[10:11]
	v_fma_f64 v[10:11], v[47:48], s[12:13], v[41:42]
	v_add_f64 v[0:1], v[0:1], v[12:13]
	v_fma_f64 v[12:13], v[47:48], s[14:15], v[41:42]
	v_fma_f64 v[41:42], v[51:52], s[12:13], v[43:44]
	v_add_f64 v[2:3], v[2:3], v[14:15]
	v_fma_f64 v[14:15], v[51:52], s[14:15], v[43:44]
	v_add_f64 v[43:44], v[220:221], v[4:5]
	v_add_f64 v[8:9], v[6:7], v[8:9]
	v_fma_f64 v[4:5], v[45:46], s[2:3], v[10:11]
	v_fma_f64 v[10:11], v[45:46], s[10:11], v[12:13]
	;; [unrolled: 1-line block ×4, first 2 shown]
	s_delay_alu instid0(VALU_DEP_4) | instskip(NEXT) | instid1(VALU_DEP_4)
	v_fma_f64 v[4:5], v[43:44], s[16:17], v[4:5]
	v_fma_f64 v[220:221], v[43:44], s[16:17], v[10:11]
	s_delay_alu instid0(VALU_DEP_4) | instskip(NEXT) | instid1(VALU_DEP_4)
	v_fma_f64 v[222:223], v[8:9], s[16:17], v[12:13]
	v_fma_f64 v[6:7], v[8:9], s[16:17], v[6:7]
	ds_store_b128 v24, v[232:235]
	ds_store_b128 v24, v[16:19] offset:1792
	ds_store_b128 v24, v[0:3] offset:3584
	;; [unrolled: 1-line block ×13, first 2 shown]
	v_add_co_u32 v0, s1, 0x6000, v27
	s_delay_alu instid0(VALU_DEP_1) | instskip(SKIP_1) | instid1(VALU_DEP_1)
	v_add_co_ci_u32_e64 v1, s1, 0, v248, s1
	v_add_co_u32 v41, s1, 0x9000, v27
	v_add_co_ci_u32_e64 v42, s1, 0, v248, s1
	ds_store_b128 v24, v[220:223] offset:25088
	s_waitcnt lgkmcnt(0)
	s_barrier
	buffer_gl0_inv
	scratch_store_b64 off, v[0:1], off offset:376 ; 8-byte Folded Spill
	global_load_b128 v[0:3], v[0:1], off offset:2304
	ds_load_b128 v[4:7], v24
	ds_load_b128 v[33:36], v24 offset:8960
	ds_load_b128 v[37:40], v24 offset:22400
	;; [unrolled: 1-line block ×3, first 2 shown]
	s_waitcnt vmcnt(0) lgkmcnt(3)
	v_mul_f64 v[8:9], v[6:7], v[2:3]
	v_mul_f64 v[2:3], v[4:5], v[2:3]
	s_delay_alu instid0(VALU_DEP_2) | instskip(NEXT) | instid1(VALU_DEP_2)
	v_fma_f64 v[224:225], v[4:5], v[0:1], -v[8:9]
	v_fma_f64 v[226:227], v[6:7], v[0:1], v[2:3]
	global_load_b128 v[0:3], v[41:42], off offset:3456
	ds_load_b128 v[4:7], v24 offset:13440
	s_waitcnt vmcnt(0) lgkmcnt(0)
	v_mul_f64 v[8:9], v[6:7], v[2:3]
	v_mul_f64 v[2:3], v[4:5], v[2:3]
	s_delay_alu instid0(VALU_DEP_2) | instskip(NEXT) | instid1(VALU_DEP_2)
	v_fma_f64 v[228:229], v[4:5], v[0:1], -v[8:9]
	v_fma_f64 v[230:231], v[6:7], v[0:1], v[2:3]
	v_add_co_u32 v0, s1, 0x6900, v27
	s_delay_alu instid0(VALU_DEP_1)
	v_add_co_ci_u32_e64 v1, s1, 0, v248, s1
	ds_load_b128 v[6:9], v24 offset:1792
	global_load_b128 v[2:5], v[0:1], off offset:1792
	s_waitcnt vmcnt(0) lgkmcnt(0)
	v_mul_f64 v[10:11], v[8:9], v[4:5]
	v_mul_f64 v[4:5], v[6:7], v[4:5]
	s_delay_alu instid0(VALU_DEP_2) | instskip(SKIP_1) | instid1(VALU_DEP_1)
	v_fma_f64 v[232:233], v[6:7], v[2:3], -v[10:11]
	v_add_co_u32 v10, s1, 0xa000, v27
	v_add_co_ci_u32_e64 v11, s1, 0, v248, s1
	s_delay_alu instid0(VALU_DEP_4)
	v_fma_f64 v[234:235], v[8:9], v[2:3], v[4:5]
	ds_load_b128 v[6:9], v24 offset:15232
	global_load_b128 v[2:5], v[10:11], off offset:1152
	s_waitcnt vmcnt(0) lgkmcnt(0)
	v_mul_f64 v[12:13], v[8:9], v[4:5]
	v_mul_f64 v[4:5], v[6:7], v[4:5]
	s_delay_alu instid0(VALU_DEP_2) | instskip(NEXT) | instid1(VALU_DEP_2)
	v_fma_f64 v[236:237], v[6:7], v[2:3], -v[12:13]
	v_fma_f64 v[238:239], v[8:9], v[2:3], v[4:5]
	global_load_b128 v[2:5], v[0:1], off offset:3584
	ds_load_b128 v[6:9], v24 offset:3584
	s_waitcnt vmcnt(0) lgkmcnt(0)
	v_mul_f64 v[12:13], v[8:9], v[4:5]
	v_mul_f64 v[4:5], v[6:7], v[4:5]
	s_delay_alu instid0(VALU_DEP_2) | instskip(NEXT) | instid1(VALU_DEP_2)
	v_fma_f64 v[240:241], v[6:7], v[2:3], -v[12:13]
	v_fma_f64 v[242:243], v[8:9], v[2:3], v[4:5]
	global_load_b128 v[2:5], v[10:11], off offset:2944
	ds_load_b128 v[6:9], v24 offset:17024
	s_waitcnt vmcnt(0) lgkmcnt(0)
	v_mul_f64 v[10:11], v[8:9], v[4:5]
	v_mul_f64 v[4:5], v[6:7], v[4:5]
	s_delay_alu instid0(VALU_DEP_2) | instskip(NEXT) | instid1(VALU_DEP_2)
	v_fma_f64 v[244:245], v[6:7], v[2:3], -v[10:11]
	v_fma_f64 v[246:247], v[8:9], v[2:3], v[4:5]
	v_add_co_u32 v2, s1, 0x7000, v27
	s_delay_alu instid0(VALU_DEP_1)
	v_add_co_ci_u32_e64 v3, s1, 0, v248, s1
	ds_load_b128 v[6:9], v24 offset:5376
	global_load_b128 v[2:5], v[2:3], off offset:3584
	s_waitcnt vmcnt(0) lgkmcnt(0)
	v_mul_f64 v[10:11], v[8:9], v[4:5]
	v_mul_f64 v[12:13], v[6:7], v[4:5]
	s_delay_alu instid0(VALU_DEP_2) | instskip(NEXT) | instid1(VALU_DEP_2)
	v_fma_f64 v[4:5], v[6:7], v[2:3], -v[10:11]
	v_fma_f64 v[6:7], v[8:9], v[2:3], v[12:13]
	v_add_co_u32 v2, s1, 0xb000, v27
	s_delay_alu instid0(VALU_DEP_1)
	v_add_co_ci_u32_e64 v3, s1, 0, v248, s1
	ds_load_b128 v[12:15], v24 offset:18816
	global_load_b128 v[8:11], v[2:3], off offset:640
	;; [unrolled: 11-line block ×3, first 2 shown]
	s_waitcnt vmcnt(0) lgkmcnt(0)
	v_mul_f64 v[22:23], v[20:21], v[16:17]
	v_mul_f64 v[29:30], v[18:19], v[16:17]
	s_delay_alu instid0(VALU_DEP_2) | instskip(NEXT) | instid1(VALU_DEP_2)
	v_fma_f64 v[16:17], v[18:19], v[14:15], -v[22:23]
	v_fma_f64 v[18:19], v[20:21], v[14:15], v[29:30]
	global_load_b128 v[20:23], v[2:3], off offset:2432
	ds_load_b128 v[29:32], v24 offset:20608
	s_waitcnt vmcnt(0) lgkmcnt(0)
	v_mul_f64 v[2:3], v[31:32], v[22:23]
	v_mul_f64 v[14:15], v[29:30], v[22:23]
	s_delay_alu instid0(VALU_DEP_2) | instskip(NEXT) | instid1(VALU_DEP_2)
	v_fma_f64 v[29:30], v[29:30], v[20:21], -v[2:3]
	v_fma_f64 v[31:32], v[31:32], v[20:21], v[14:15]
	global_load_b128 v[20:23], v[8:9], off offset:3072
	s_waitcnt vmcnt(0)
	v_mul_f64 v[2:3], v[35:36], v[22:23]
	v_mul_f64 v[8:9], v[33:34], v[22:23]
	s_delay_alu instid0(VALU_DEP_2) | instskip(SKIP_1) | instid1(VALU_DEP_1)
	v_fma_f64 v[33:34], v[33:34], v[20:21], -v[2:3]
	v_add_co_u32 v2, s1, 0xc000, v27
	v_add_co_ci_u32_e64 v3, s1, 0, v248, s1
	s_delay_alu instid0(VALU_DEP_4)
	v_fma_f64 v[35:36], v[35:36], v[20:21], v[8:9]
	ds_load_b128 v[248:251], v24 offset:10752
	global_load_b128 v[20:23], v[2:3], off offset:128
	s_waitcnt vmcnt(0)
	v_mul_f64 v[8:9], v[39:40], v[22:23]
	v_mul_f64 v[14:15], v[37:38], v[22:23]
	s_delay_alu instid0(VALU_DEP_2) | instskip(NEXT) | instid1(VALU_DEP_2)
	v_fma_f64 v[37:38], v[37:38], v[20:21], -v[8:9]
	v_fma_f64 v[39:40], v[39:40], v[20:21], v[14:15]
	global_load_b128 v[20:23], v[41:42], off offset:768
	s_waitcnt vmcnt(0) lgkmcnt(0)
	v_mul_f64 v[8:9], v[250:251], v[22:23]
	v_mul_f64 v[14:15], v[248:249], v[22:23]
	s_delay_alu instid0(VALU_DEP_2) | instskip(NEXT) | instid1(VALU_DEP_2)
	v_fma_f64 v[248:249], v[248:249], v[20:21], -v[8:9]
	v_fma_f64 v[250:251], v[250:251], v[20:21], v[14:15]
	global_load_b128 v[20:23], v[2:3], off offset:1920
	s_waitcnt vmcnt(0)
	v_mul_f64 v[2:3], v[254:255], v[22:23]
	v_mul_f64 v[8:9], v[252:253], v[22:23]
	s_delay_alu instid0(VALU_DEP_2) | instskip(NEXT) | instid1(VALU_DEP_2)
	v_fma_f64 v[252:253], v[252:253], v[20:21], -v[2:3]
	v_fma_f64 v[254:255], v[254:255], v[20:21], v[8:9]
	ds_store_b128 v24, v[224:227]
	ds_store_b128 v24, v[228:231] offset:13440
	ds_store_b128 v24, v[232:235] offset:1792
	;; [unrolled: 1-line block ×13, first 2 shown]
	s_and_saveexec_b32 s2, vcc_lo
	s_cbranch_execz .LBB0_25
; %bb.24:
	v_add_co_u32 v2, s1, 0x3000, v0
	s_delay_alu instid0(VALU_DEP_1) | instskip(SKIP_1) | instid1(VALU_DEP_1)
	v_add_co_ci_u32_e64 v3, s1, 0, v1, s1
	v_add_co_u32 v4, s1, 0x6000, v0
	v_add_co_ci_u32_e64 v5, s1, 0, v1, s1
	s_clause 0x1
	global_load_b128 v[0:3], v[2:3], off offset:256
	global_load_b128 v[4:7], v[4:5], off offset:1408
	ds_load_b128 v[8:11], v24 offset:12544
	ds_load_b128 v[12:15], v24 offset:25984
	s_waitcnt vmcnt(1) lgkmcnt(1)
	v_mul_f64 v[16:17], v[10:11], v[2:3]
	v_mul_f64 v[2:3], v[8:9], v[2:3]
	s_waitcnt vmcnt(0) lgkmcnt(0)
	v_mul_f64 v[18:19], v[14:15], v[6:7]
	v_mul_f64 v[20:21], v[12:13], v[6:7]
	s_delay_alu instid0(VALU_DEP_4) | instskip(NEXT) | instid1(VALU_DEP_4)
	v_fma_f64 v[6:7], v[8:9], v[0:1], -v[16:17]
	v_fma_f64 v[8:9], v[10:11], v[0:1], v[2:3]
	s_delay_alu instid0(VALU_DEP_4) | instskip(NEXT) | instid1(VALU_DEP_4)
	v_fma_f64 v[0:1], v[12:13], v[4:5], -v[18:19]
	v_fma_f64 v[2:3], v[14:15], v[4:5], v[20:21]
	ds_store_b128 v24, v[6:9] offset:12544
	ds_store_b128 v24, v[0:3] offset:25984
.LBB0_25:
	s_or_b32 exec_lo, exec_lo, s2
	s_waitcnt lgkmcnt(0)
	s_waitcnt_vscnt null, 0x0
	s_barrier
	buffer_gl0_inv
	ds_load_b128 v[16:19], v24
	ds_load_b128 v[8:11], v24 offset:1792
	ds_load_b128 v[12:15], v24 offset:15232
	ds_load_b128 v[4:7], v24 offset:17024
	ds_load_b128 v[0:3], v24 offset:3584
	ds_load_b128 v[248:251], v24 offset:5376
	ds_load_b128 v[252:255], v24 offset:18816
	ds_load_b128 v[236:239], v24 offset:20608
	ds_load_b128 v[228:231], v24 offset:7168
	ds_load_b128 v[224:227], v24 offset:8960
	ds_load_b128 v[20:23], v24 offset:13440
	ds_load_b128 v[232:235], v24 offset:10752
	ds_load_b128 v[244:247], v24 offset:22400
	ds_load_b128 v[240:243], v24 offset:24192
	s_and_saveexec_b32 s1, vcc_lo
	s_cbranch_execz .LBB0_27
; %bb.26:
	ds_load_b128 v[220:223], v24 offset:12544
	ds_load_b128 v[216:219], v24 offset:25984
.LBB0_27:
	s_or_b32 exec_lo, exec_lo, s1
	s_waitcnt lgkmcnt(3)
	v_add_f64 v[20:21], v[16:17], -v[20:21]
	v_add_f64 v[22:23], v[18:19], -v[22:23]
	v_lshlrev_b32_e32 v27, 5, v25
	s_waitcnt lgkmcnt(0)
	s_barrier
	buffer_gl0_inv
	v_add_f64 v[12:13], v[8:9], -v[12:13]
	v_add_f64 v[14:15], v[10:11], -v[14:15]
	;; [unrolled: 1-line block ×4, first 2 shown]
	v_fma_f64 v[16:17], v[16:17], 2.0, -v[20:21]
	v_fma_f64 v[18:19], v[18:19], 2.0, -v[22:23]
	ds_store_b128 v27, v[20:23] offset:16
	ds_store_b128 v27, v[16:19]
	scratch_load_b32 v16, off, off offset:252 ; 4-byte Folded Reload
	v_fma_f64 v[8:9], v[8:9], 2.0, -v[12:13]
	v_fma_f64 v[10:11], v[10:11], 2.0, -v[14:15]
	;; [unrolled: 1-line block ×4, first 2 shown]
	s_waitcnt vmcnt(0)
	ds_store_b128 v16, v[8:11]
	ds_store_b128 v16, v[12:15] offset:16
	scratch_load_b32 v8, off, off offset:248 ; 4-byte Folded Reload
	v_add_f64 v[10:11], v[226:227], -v[246:247]
	v_add_f64 v[12:13], v[232:233], -v[240:241]
	;; [unrolled: 1-line block ×3, first 2 shown]
	s_waitcnt vmcnt(0)
	ds_store_b128 v8, v[0:3]
	ds_store_b128 v8, v[4:7] offset:16
	scratch_load_b32 v8, off, off offset:244 ; 4-byte Folded Reload
	v_add_f64 v[0:1], v[248:249], -v[252:253]
	v_add_f64 v[2:3], v[250:251], -v[254:255]
	v_fma_f64 v[22:23], v[226:227], 2.0, -v[10:11]
	v_fma_f64 v[29:30], v[232:233], 2.0, -v[12:13]
	;; [unrolled: 1-line block ×5, first 2 shown]
	s_waitcnt vmcnt(0)
	ds_store_b128 v8, v[4:7]
	ds_store_b128 v8, v[0:3] offset:16
	scratch_load_b32 v27, off, off offset:264 ; 4-byte Folded Reload
	v_add_f64 v[4:5], v[228:229], -v[236:237]
	v_add_f64 v[6:7], v[230:231], -v[238:239]
	;; [unrolled: 1-line block ×5, first 2 shown]
	v_fma_f64 v[16:17], v[228:229], 2.0, -v[4:5]
	v_fma_f64 v[18:19], v[230:231], 2.0, -v[6:7]
	v_fma_f64 v[20:21], v[224:225], 2.0, -v[8:9]
	v_fma_f64 v[216:217], v[220:221], 2.0, -v[0:1]
	v_fma_f64 v[218:219], v[222:223], 2.0, -v[2:3]
	s_waitcnt vmcnt(0)
	ds_store_b128 v27, v[16:19]
	ds_store_b128 v27, v[4:7] offset:16
	scratch_load_b32 v4, off, off offset:272 ; 4-byte Folded Reload
	s_waitcnt vmcnt(0)
	ds_store_b128 v4, v[20:23]
	ds_store_b128 v4, v[8:11] offset:16
	scratch_load_b32 v4, off, off offset:260 ; 4-byte Folded Reload
	s_waitcnt vmcnt(0)
	ds_store_b128 v4, v[29:32]
	ds_store_b128 v4, v[12:15] offset:16
	s_and_saveexec_b32 s1, vcc_lo
	s_cbranch_execz .LBB0_29
; %bb.28:
	scratch_load_b32 v4, off, off offset:372 ; 4-byte Folded Reload
	s_waitcnt vmcnt(0)
	ds_store_b128 v4, v[216:219]
	ds_store_b128 v4, v[0:3] offset:16
.LBB0_29:
	s_or_b32 exec_lo, exec_lo, s1
	s_waitcnt lgkmcnt(0)
	s_barrier
	buffer_gl0_inv
	ds_load_b128 v[244:247], v24
	ds_load_b128 v[240:243], v24 offset:1792
	ds_load_b128 v[252:255], v24 offset:15232
	;; [unrolled: 1-line block ×13, first 2 shown]
	s_and_saveexec_b32 s1, vcc_lo
	s_cbranch_execz .LBB0_31
; %bb.30:
	ds_load_b128 v[216:219], v24 offset:12544
	ds_load_b128 v[0:3], v24 offset:25984
.LBB0_31:
	s_or_b32 exec_lo, exec_lo, s1
	s_waitcnt lgkmcnt(7)
	v_mul_f64 v[37:38], v[90:91], v[14:15]
	s_waitcnt lgkmcnt(0)
	s_barrier
	buffer_gl0_inv
	v_mul_f64 v[29:30], v[90:91], v[22:23]
	v_mul_f64 v[31:32], v[90:91], v[252:253]
	;; [unrolled: 1-line block ×4, first 2 shown]
	v_fma_f64 v[37:38], v[88:89], v[12:13], v[37:38]
	v_mul_f64 v[12:13], v[90:91], v[12:13]
	v_fma_f64 v[29:30], v[88:89], v[20:21], v[29:30]
	v_mul_f64 v[20:21], v[90:91], v[20:21]
	v_fma_f64 v[31:32], v[88:89], v[254:255], -v[31:32]
	v_fma_f64 v[33:34], v[88:89], v[248:249], v[33:34]
	v_fma_f64 v[35:36], v[88:89], v[250:251], -v[35:36]
	v_fma_f64 v[12:13], v[88:89], v[14:15], -v[12:13]
	v_mul_f64 v[14:15], v[90:91], v[10:11]
	v_fma_f64 v[20:21], v[88:89], v[22:23], -v[20:21]
	v_mul_f64 v[22:23], v[90:91], v[254:255]
	s_delay_alu instid0(VALU_DEP_3) | instskip(SKIP_1) | instid1(VALU_DEP_3)
	v_fma_f64 v[14:15], v[88:89], v[8:9], v[14:15]
	v_mul_f64 v[8:9], v[90:91], v[8:9]
	v_fma_f64 v[22:23], v[88:89], v[252:253], v[22:23]
	s_delay_alu instid0(VALU_DEP_2) | instskip(SKIP_1) | instid1(VALU_DEP_1)
	v_fma_f64 v[8:9], v[88:89], v[10:11], -v[8:9]
	v_mul_f64 v[10:11], v[90:91], v[18:19]
	v_fma_f64 v[39:40], v[88:89], v[16:17], v[10:11]
	v_mul_f64 v[10:11], v[90:91], v[16:17]
	s_delay_alu instid0(VALU_DEP_1) | instskip(SKIP_1) | instid1(VALU_DEP_1)
	v_fma_f64 v[16:17], v[88:89], v[18:19], -v[10:11]
	v_mul_f64 v[10:11], v[90:91], v[6:7]
	v_fma_f64 v[41:42], v[88:89], v[4:5], v[10:11]
	scratch_load_b32 v10, off, off offset:360 ; 4-byte Folded Reload
	v_mul_f64 v[4:5], v[90:91], v[4:5]
	s_delay_alu instid0(VALU_DEP_1) | instskip(SKIP_1) | instid1(VALU_DEP_1)
	v_fma_f64 v[43:44], v[88:89], v[6:7], -v[4:5]
	v_mul_f64 v[4:5], v[90:91], v[2:3]
	v_fma_f64 v[45:46], v[88:89], v[0:1], v[4:5]
	v_mul_f64 v[0:1], v[90:91], v[0:1]
	s_delay_alu instid0(VALU_DEP_1) | instskip(SKIP_3) | instid1(VALU_DEP_3)
	v_fma_f64 v[47:48], v[88:89], v[2:3], -v[0:1]
	v_add_f64 v[0:1], v[244:245], -v[29:30]
	v_add_f64 v[2:3], v[246:247], -v[20:21]
	;; [unrolled: 1-line block ×3, first 2 shown]
	v_fma_f64 v[4:5], v[244:245], 2.0, -v[0:1]
	s_delay_alu instid0(VALU_DEP_3) | instskip(NEXT) | instid1(VALU_DEP_3)
	v_fma_f64 v[6:7], v[246:247], 2.0, -v[2:3]
	v_fma_f64 v[29:30], v[220:221], 2.0, -v[20:21]
	s_waitcnt vmcnt(0)
	ds_store_b128 v10, v[0:3] offset:32
	ds_store_b128 v10, v[4:7]
	scratch_load_b32 v10, off, off offset:348 ; 4-byte Folded Reload
	v_add_f64 v[0:1], v[240:241], -v[22:23]
	v_add_f64 v[2:3], v[242:243], -v[31:32]
	;; [unrolled: 1-line block ×3, first 2 shown]
	s_delay_alu instid0(VALU_DEP_3) | instskip(NEXT) | instid1(VALU_DEP_3)
	v_fma_f64 v[4:5], v[240:241], 2.0, -v[0:1]
	v_fma_f64 v[6:7], v[242:243], 2.0, -v[2:3]
	s_delay_alu instid0(VALU_DEP_3)
	v_fma_f64 v[31:32], v[222:223], 2.0, -v[22:23]
	s_waitcnt vmcnt(0)
	ds_store_b128 v10, v[4:7]
	ds_store_b128 v10, v[0:3] offset:32
	scratch_load_b32 v10, off, off offset:332 ; 4-byte Folded Reload
	v_add_f64 v[0:1], v[236:237], -v[33:34]
	v_add_f64 v[2:3], v[238:239], -v[35:36]
	s_delay_alu instid0(VALU_DEP_2) | instskip(NEXT) | instid1(VALU_DEP_2)
	v_fma_f64 v[4:5], v[236:237], 2.0, -v[0:1]
	v_fma_f64 v[6:7], v[238:239], 2.0, -v[2:3]
	s_waitcnt vmcnt(0)
	ds_store_b128 v10, v[4:7]
	ds_store_b128 v10, v[0:3] offset:32
	scratch_load_b32 v10, off, off offset:320 ; 4-byte Folded Reload
	v_add_f64 v[0:1], v[232:233], -v[37:38]
	v_add_f64 v[2:3], v[234:235], -v[12:13]
	;; [unrolled: 1-line block ×3, first 2 shown]
	s_delay_alu instid0(VALU_DEP_3) | instskip(NEXT) | instid1(VALU_DEP_3)
	v_fma_f64 v[4:5], v[232:233], 2.0, -v[0:1]
	v_fma_f64 v[6:7], v[234:235], 2.0, -v[2:3]
	s_waitcnt vmcnt(0)
	ds_store_b128 v10, v[4:7]
	ds_store_b128 v10, v[0:3] offset:32
	scratch_load_b32 v27, off, off offset:308 ; 4-byte Folded Reload
	v_add_f64 v[4:5], v[228:229], -v[14:15]
	v_add_f64 v[6:7], v[230:231], -v[8:9]
	;; [unrolled: 1-line block ×3, first 2 shown]
	v_fma_f64 v[16:17], v[224:225], 2.0, -v[12:13]
	v_add_f64 v[0:1], v[216:217], -v[45:46]
	v_add_f64 v[2:3], v[218:219], -v[47:48]
	v_fma_f64 v[8:9], v[228:229], 2.0, -v[4:5]
	v_fma_f64 v[10:11], v[230:231], 2.0, -v[6:7]
	;; [unrolled: 1-line block ×3, first 2 shown]
	s_waitcnt vmcnt(0)
	ds_store_b128 v27, v[8:11]
	ds_store_b128 v27, v[4:7] offset:32
	scratch_load_b32 v4, off, off offset:296 ; 4-byte Folded Reload
	v_fma_f64 v[88:89], v[216:217], 2.0, -v[0:1]
	v_fma_f64 v[90:91], v[218:219], 2.0, -v[2:3]
	s_waitcnt vmcnt(0)
	ds_store_b128 v4, v[16:19]
	ds_store_b128 v4, v[12:15] offset:32
	scratch_load_b32 v4, off, off offset:280 ; 4-byte Folded Reload
	s_waitcnt vmcnt(0)
	ds_store_b128 v4, v[29:32]
	ds_store_b128 v4, v[20:23] offset:32
	s_and_saveexec_b32 s1, vcc_lo
	s_cbranch_execz .LBB0_33
; %bb.32:
	v_and_b32_e32 v4, 1, v25
	s_delay_alu instid0(VALU_DEP_1) | instskip(NEXT) | instid1(VALU_DEP_1)
	v_and_or_b32 v4, 0x6fc, v55, v4
	v_lshlrev_b32_e32 v4, 4, v4
	ds_store_b128 v4, v[88:91]
	ds_store_b128 v4, v[0:3] offset:32
.LBB0_33:
	s_or_b32 exec_lo, exec_lo, s1
	s_waitcnt lgkmcnt(0)
	s_barrier
	buffer_gl0_inv
	ds_load_b128 v[240:243], v24
	ds_load_b128 v[236:239], v24 offset:1792
	ds_load_b128 v[248:251], v24 offset:15232
	;; [unrolled: 1-line block ×13, first 2 shown]
	s_and_saveexec_b32 s1, vcc_lo
	s_cbranch_execz .LBB0_35
; %bb.34:
	ds_load_b128 v[88:91], v24 offset:12544
	ds_load_b128 v[0:3], v24 offset:25984
.LBB0_35:
	s_or_b32 exec_lo, exec_lo, s1
	s_waitcnt lgkmcnt(7)
	v_mul_f64 v[37:38], v[94:95], v[14:15]
	s_waitcnt lgkmcnt(3)
	v_mul_f64 v[29:30], v[94:95], v[22:23]
	s_waitcnt lgkmcnt(0)
	s_barrier
	buffer_gl0_inv
	v_mul_f64 v[31:32], v[94:95], v[248:249]
	v_mul_f64 v[33:34], v[94:95], v[246:247]
	;; [unrolled: 1-line block ×3, first 2 shown]
	v_fma_f64 v[37:38], v[92:93], v[12:13], v[37:38]
	v_mul_f64 v[12:13], v[94:95], v[12:13]
	v_fma_f64 v[29:30], v[92:93], v[20:21], v[29:30]
	v_mul_f64 v[20:21], v[94:95], v[20:21]
	v_fma_f64 v[31:32], v[92:93], v[250:251], -v[31:32]
	v_fma_f64 v[33:34], v[92:93], v[244:245], v[33:34]
	v_fma_f64 v[35:36], v[92:93], v[246:247], -v[35:36]
	v_fma_f64 v[12:13], v[92:93], v[14:15], -v[12:13]
	v_mul_f64 v[14:15], v[94:95], v[10:11]
	v_fma_f64 v[20:21], v[92:93], v[22:23], -v[20:21]
	v_mul_f64 v[22:23], v[94:95], v[250:251]
	s_delay_alu instid0(VALU_DEP_3) | instskip(SKIP_1) | instid1(VALU_DEP_3)
	v_fma_f64 v[14:15], v[92:93], v[8:9], v[14:15]
	v_mul_f64 v[8:9], v[94:95], v[8:9]
	v_fma_f64 v[22:23], v[92:93], v[248:249], v[22:23]
	s_delay_alu instid0(VALU_DEP_2) | instskip(SKIP_1) | instid1(VALU_DEP_1)
	v_fma_f64 v[8:9], v[92:93], v[10:11], -v[8:9]
	v_mul_f64 v[10:11], v[94:95], v[18:19]
	v_fma_f64 v[10:11], v[92:93], v[16:17], v[10:11]
	v_mul_f64 v[16:17], v[94:95], v[16:17]
	s_delay_alu instid0(VALU_DEP_1) | instskip(SKIP_1) | instid1(VALU_DEP_1)
	v_fma_f64 v[16:17], v[92:93], v[18:19], -v[16:17]
	v_mul_f64 v[18:19], v[94:95], v[6:7]
	v_fma_f64 v[18:19], v[92:93], v[4:5], v[18:19]
	v_mul_f64 v[4:5], v[94:95], v[4:5]
	s_delay_alu instid0(VALU_DEP_1) | instskip(SKIP_1) | instid1(VALU_DEP_1)
	v_fma_f64 v[39:40], v[92:93], v[6:7], -v[4:5]
	v_mul_f64 v[4:5], v[94:95], v[2:3]
	v_fma_f64 v[41:42], v[92:93], v[0:1], v[4:5]
	v_mul_f64 v[0:1], v[94:95], v[0:1]
	s_delay_alu instid0(VALU_DEP_1) | instskip(SKIP_4) | instid1(VALU_DEP_2)
	v_fma_f64 v[43:44], v[92:93], v[2:3], -v[0:1]
	v_add_f64 v[2:3], v[242:243], -v[20:21]
	scratch_load_b32 v20, off, off offset:352 ; 4-byte Folded Reload
	v_add_f64 v[0:1], v[240:241], -v[29:30]
	v_fma_f64 v[6:7], v[242:243], 2.0, -v[2:3]
	v_fma_f64 v[4:5], v[240:241], 2.0, -v[0:1]
	s_waitcnt vmcnt(0)
	ds_store_b128 v20, v[0:3] offset:64
	ds_store_b128 v20, v[4:7]
	scratch_load_b32 v20, off, off offset:340 ; 4-byte Folded Reload
	v_add_f64 v[0:1], v[236:237], -v[22:23]
	v_add_f64 v[2:3], v[238:239], -v[31:32]
	s_delay_alu instid0(VALU_DEP_2) | instskip(NEXT) | instid1(VALU_DEP_2)
	v_fma_f64 v[4:5], v[236:237], 2.0, -v[0:1]
	v_fma_f64 v[6:7], v[238:239], 2.0, -v[2:3]
	s_waitcnt vmcnt(0)
	ds_store_b128 v20, v[4:7]
	ds_store_b128 v20, v[0:3] offset:64
	scratch_load_b32 v20, off, off offset:324 ; 4-byte Folded Reload
	v_add_f64 v[0:1], v[232:233], -v[33:34]
	v_add_f64 v[2:3], v[234:235], -v[35:36]
	s_delay_alu instid0(VALU_DEP_2) | instskip(NEXT) | instid1(VALU_DEP_2)
	v_fma_f64 v[4:5], v[232:233], 2.0, -v[0:1]
	v_fma_f64 v[6:7], v[234:235], 2.0, -v[2:3]
	s_waitcnt vmcnt(0)
	ds_store_b128 v20, v[4:7]
	ds_store_b128 v20, v[0:3] offset:64
	v_add_f64 v[2:3], v[230:231], -v[12:13]
	scratch_load_b32 v12, off, off offset:312 ; 4-byte Folded Reload
	v_add_f64 v[0:1], v[228:229], -v[37:38]
	v_fma_f64 v[6:7], v[230:231], 2.0, -v[2:3]
	v_add_f64 v[230:231], v[90:91], -v[43:44]
	s_delay_alu instid0(VALU_DEP_3)
	v_fma_f64 v[4:5], v[228:229], 2.0, -v[0:1]
	v_add_f64 v[228:229], v[88:89], -v[41:42]
	s_waitcnt vmcnt(0)
	ds_store_b128 v12, v[4:7]
	ds_store_b128 v12, v[0:3] offset:64
	scratch_load_b32 v27, off, off offset:300 ; 4-byte Folded Reload
	v_add_f64 v[0:1], v[224:225], -v[14:15]
	v_add_f64 v[2:3], v[226:227], -v[8:9]
	;; [unrolled: 1-line block ×6, first 2 shown]
	v_fma_f64 v[88:89], v[88:89], 2.0, -v[228:229]
	v_fma_f64 v[90:91], v[90:91], 2.0, -v[230:231]
	;; [unrolled: 1-line block ×8, first 2 shown]
	s_waitcnt vmcnt(0)
	ds_store_b128 v27, v[4:7]
	ds_store_b128 v27, v[0:3] offset:64
	scratch_load_b32 v0, off, off offset:288 ; 4-byte Folded Reload
	s_waitcnt vmcnt(0)
	ds_store_b128 v0, v[12:15]
	ds_store_b128 v0, v[8:11] offset:64
	scratch_load_b32 v0, off, off offset:268 ; 4-byte Folded Reload
	s_waitcnt vmcnt(0)
	ds_store_b128 v0, v[20:23]
	ds_store_b128 v0, v[16:19] offset:64
	s_and_saveexec_b32 s1, vcc_lo
	s_cbranch_execz .LBB0_37
; %bb.36:
	v_and_b32_e32 v0, 3, v25
	s_delay_alu instid0(VALU_DEP_1) | instskip(NEXT) | instid1(VALU_DEP_1)
	v_and_or_b32 v0, 0x6f8, v55, v0
	v_lshlrev_b32_e32 v0, 4, v0
	ds_store_b128 v0, v[88:91]
	ds_store_b128 v0, v[228:231] offset:64
.LBB0_37:
	s_or_b32 exec_lo, exec_lo, s1
	s_waitcnt lgkmcnt(0)
	s_barrier
	buffer_gl0_inv
	ds_load_b128 v[240:243], v24
	ds_load_b128 v[236:239], v24 offset:1792
	ds_load_b128 v[244:247], v24 offset:15232
	;; [unrolled: 1-line block ×13, first 2 shown]
	s_and_saveexec_b32 s1, vcc_lo
	s_cbranch_execz .LBB0_39
; %bb.38:
	ds_load_b128 v[88:91], v24 offset:12544
	ds_load_b128 v[228:231], v24 offset:25984
.LBB0_39:
	s_or_b32 exec_lo, exec_lo, s1
	s_waitcnt lgkmcnt(10)
	v_mul_f64 v[33:34], v[82:83], v[18:19]
	s_waitcnt lgkmcnt(0)
	s_barrier
	buffer_gl0_inv
	v_mul_f64 v[29:30], v[82:83], v[22:23]
	v_mul_f64 v[31:32], v[82:83], v[244:245]
	v_fma_f64 v[33:34], v[80:81], v[16:17], v[33:34]
	v_mul_f64 v[16:17], v[82:83], v[16:17]
	s_delay_alu instid0(VALU_DEP_4) | instskip(SKIP_2) | instid1(VALU_DEP_4)
	v_fma_f64 v[29:30], v[80:81], v[20:21], v[29:30]
	v_mul_f64 v[20:21], v[82:83], v[20:21]
	v_fma_f64 v[31:32], v[80:81], v[246:247], -v[31:32]
	v_fma_f64 v[16:17], v[80:81], v[18:19], -v[16:17]
	v_mul_f64 v[18:19], v[82:83], v[10:11]
	s_delay_alu instid0(VALU_DEP_4) | instskip(SKIP_1) | instid1(VALU_DEP_3)
	v_fma_f64 v[20:21], v[80:81], v[22:23], -v[20:21]
	v_mul_f64 v[22:23], v[82:83], v[246:247]
	v_fma_f64 v[18:19], v[80:81], v[8:9], v[18:19]
	v_mul_f64 v[8:9], v[82:83], v[8:9]
	s_delay_alu instid0(VALU_DEP_3) | instskip(NEXT) | instid1(VALU_DEP_2)
	v_fma_f64 v[22:23], v[80:81], v[244:245], v[22:23]
	v_fma_f64 v[8:9], v[80:81], v[10:11], -v[8:9]
	v_mul_f64 v[10:11], v[82:83], v[6:7]
	s_delay_alu instid0(VALU_DEP_1) | instskip(SKIP_1) | instid1(VALU_DEP_1)
	v_fma_f64 v[10:11], v[80:81], v[4:5], v[10:11]
	v_mul_f64 v[4:5], v[82:83], v[4:5]
	v_fma_f64 v[35:36], v[80:81], v[6:7], -v[4:5]
	v_mul_f64 v[4:5], v[82:83], v[14:15]
	s_delay_alu instid0(VALU_DEP_1) | instskip(SKIP_1) | instid1(VALU_DEP_1)
	v_fma_f64 v[37:38], v[80:81], v[12:13], v[4:5]
	v_mul_f64 v[4:5], v[82:83], v[12:13]
	v_fma_f64 v[12:13], v[80:81], v[14:15], -v[4:5]
	scratch_load_b32 v14, off, off offset:356 ; 4-byte Folded Reload
	v_mul_f64 v[4:5], v[82:83], v[2:3]
	s_delay_alu instid0(VALU_DEP_1) | instskip(SKIP_1) | instid1(VALU_DEP_1)
	v_fma_f64 v[39:40], v[80:81], v[0:1], v[4:5]
	v_mul_f64 v[0:1], v[82:83], v[0:1]
	v_fma_f64 v[41:42], v[80:81], v[2:3], -v[0:1]
	v_mul_f64 v[0:1], v[82:83], v[230:231]
	v_add_f64 v[2:3], v[242:243], -v[20:21]
	s_delay_alu instid0(VALU_DEP_2) | instskip(SKIP_1) | instid1(VALU_DEP_3)
	v_fma_f64 v[43:44], v[80:81], v[228:229], v[0:1]
	v_mul_f64 v[0:1], v[82:83], v[228:229]
	v_fma_f64 v[6:7], v[242:243], 2.0, -v[2:3]
	s_delay_alu instid0(VALU_DEP_2) | instskip(SKIP_2) | instid1(VALU_DEP_3)
	v_fma_f64 v[45:46], v[80:81], v[230:231], -v[0:1]
	v_add_f64 v[0:1], v[240:241], -v[29:30]
	v_add_f64 v[80:81], v[88:89], -v[43:44]
	v_add_f64 v[82:83], v[90:91], -v[45:46]
	s_delay_alu instid0(VALU_DEP_3)
	v_fma_f64 v[4:5], v[240:241], 2.0, -v[0:1]
	s_waitcnt vmcnt(0)
	ds_store_b128 v14, v[0:3] offset:128
	ds_store_b128 v14, v[4:7]
	scratch_load_b32 v14, off, off offset:344 ; 4-byte Folded Reload
	v_add_f64 v[0:1], v[236:237], -v[22:23]
	v_add_f64 v[2:3], v[238:239], -v[31:32]
	s_delay_alu instid0(VALU_DEP_2) | instskip(NEXT) | instid1(VALU_DEP_2)
	v_fma_f64 v[4:5], v[236:237], 2.0, -v[0:1]
	v_fma_f64 v[6:7], v[238:239], 2.0, -v[2:3]
	s_waitcnt vmcnt(0)
	ds_store_b128 v14, v[4:7]
	ds_store_b128 v14, v[0:3] offset:128
	scratch_load_b32 v14, off, off offset:328 ; 4-byte Folded Reload
	v_add_f64 v[0:1], v[232:233], -v[33:34]
	v_add_f64 v[2:3], v[234:235], -v[16:17]
	;; [unrolled: 1-line block ×3, first 2 shown]
	s_delay_alu instid0(VALU_DEP_3) | instskip(NEXT) | instid1(VALU_DEP_3)
	v_fma_f64 v[4:5], v[232:233], 2.0, -v[0:1]
	v_fma_f64 v[6:7], v[234:235], 2.0, -v[2:3]
	s_delay_alu instid0(VALU_DEP_3)
	v_fma_f64 v[20:21], v[92:93], 2.0, -v[16:17]
	s_waitcnt vmcnt(0)
	ds_store_b128 v14, v[4:7]
	ds_store_b128 v14, v[0:3] offset:128
	v_add_f64 v[2:3], v[226:227], -v[8:9]
	scratch_load_b32 v8, off, off offset:316 ; 4-byte Folded Reload
	v_add_f64 v[0:1], v[224:225], -v[18:19]
	v_add_f64 v[18:19], v[94:95], -v[41:42]
	v_fma_f64 v[6:7], v[226:227], 2.0, -v[2:3]
	s_delay_alu instid0(VALU_DEP_3) | instskip(NEXT) | instid1(VALU_DEP_3)
	v_fma_f64 v[4:5], v[224:225], 2.0, -v[0:1]
	v_fma_f64 v[22:23], v[94:95], 2.0, -v[18:19]
	s_waitcnt vmcnt(0)
	ds_store_b128 v8, v[4:7]
	ds_store_b128 v8, v[0:3] offset:128
	scratch_load_b32 v27, off, off offset:304 ; 4-byte Folded Reload
	v_add_f64 v[0:1], v[220:221], -v[10:11]
	v_add_f64 v[2:3], v[222:223], -v[35:36]
	;; [unrolled: 1-line block ×4, first 2 shown]
	s_delay_alu instid0(VALU_DEP_4) | instskip(NEXT) | instid1(VALU_DEP_4)
	v_fma_f64 v[4:5], v[220:221], 2.0, -v[0:1]
	v_fma_f64 v[6:7], v[222:223], 2.0, -v[2:3]
	s_delay_alu instid0(VALU_DEP_4) | instskip(NEXT) | instid1(VALU_DEP_4)
	v_fma_f64 v[12:13], v[216:217], 2.0, -v[8:9]
	v_fma_f64 v[14:15], v[218:219], 2.0, -v[10:11]
	s_waitcnt vmcnt(0)
	ds_store_b128 v27, v[4:7]
	ds_store_b128 v27, v[0:3] offset:128
	scratch_load_b32 v0, off, off offset:292 ; 4-byte Folded Reload
	s_waitcnt vmcnt(0)
	ds_store_b128 v0, v[12:15]
	ds_store_b128 v0, v[8:11] offset:128
	scratch_load_b32 v0, off, off offset:276 ; 4-byte Folded Reload
	s_waitcnt vmcnt(0)
	ds_store_b128 v0, v[20:23]
	ds_store_b128 v0, v[16:19] offset:128
	s_and_saveexec_b32 s1, vcc_lo
	s_cbranch_execz .LBB0_41
; %bb.40:
	v_fma_f64 v[2:3], v[90:91], 2.0, -v[82:83]
	v_fma_f64 v[0:1], v[88:89], 2.0, -v[80:81]
	v_and_b32_e32 v4, 7, v25
	s_delay_alu instid0(VALU_DEP_1) | instskip(NEXT) | instid1(VALU_DEP_1)
	v_and_or_b32 v4, 0x6f0, v55, v4
	v_lshlrev_b32_e32 v4, 4, v4
	ds_store_b128 v4, v[0:3]
	ds_store_b128 v4, v[80:83] offset:128
.LBB0_41:
	s_or_b32 exec_lo, exec_lo, s1
	s_waitcnt lgkmcnt(0)
	s_barrier
	buffer_gl0_inv
	ds_load_b128 v[0:3], v24 offset:8960
	ds_load_b128 v[4:7], v24 offset:10752
	ds_load_b128 v[8:11], v24 offset:12544
	s_mov_b32 s2, 0xe8584caa
	s_mov_b32 s3, 0xbfebb67a
	;; [unrolled: 1-line block ×4, first 2 shown]
	s_waitcnt lgkmcnt(2)
	v_mul_f64 v[12:13], v[98:99], v[2:3]
	v_mul_f64 v[14:15], v[98:99], v[0:1]
	s_waitcnt lgkmcnt(1)
	v_mul_f64 v[16:17], v[98:99], v[6:7]
	v_mul_f64 v[18:19], v[98:99], v[4:5]
	s_delay_alu instid0(VALU_DEP_4) | instskip(NEXT) | instid1(VALU_DEP_4)
	v_fma_f64 v[12:13], v[96:97], v[0:1], v[12:13]
	v_fma_f64 v[14:15], v[96:97], v[2:3], -v[14:15]
	ds_load_b128 v[0:3], v24 offset:14336
	v_fma_f64 v[33:34], v[96:97], v[4:5], v[16:17]
	v_fma_f64 v[35:36], v[96:97], v[6:7], -v[18:19]
	s_waitcnt lgkmcnt(1)
	v_mul_f64 v[20:21], v[98:99], v[10:11]
	v_mul_f64 v[22:23], v[98:99], v[8:9]
	s_waitcnt lgkmcnt(0)
	v_mul_f64 v[4:5], v[98:99], v[2:3]
	v_mul_f64 v[6:7], v[98:99], v[0:1]
	s_delay_alu instid0(VALU_DEP_4) | instskip(NEXT) | instid1(VALU_DEP_4)
	v_fma_f64 v[37:38], v[96:97], v[8:9], v[20:21]
	v_fma_f64 v[39:40], v[96:97], v[10:11], -v[22:23]
	s_delay_alu instid0(VALU_DEP_4) | instskip(NEXT) | instid1(VALU_DEP_4)
	v_fma_f64 v[41:42], v[96:97], v[0:1], v[4:5]
	v_fma_f64 v[43:44], v[96:97], v[2:3], -v[6:7]
	ds_load_b128 v[0:3], v24 offset:16128
	s_waitcnt lgkmcnt(0)
	v_mul_f64 v[4:5], v[98:99], v[2:3]
	s_delay_alu instid0(VALU_DEP_1) | instskip(SKIP_1) | instid1(VALU_DEP_1)
	v_fma_f64 v[45:46], v[96:97], v[0:1], v[4:5]
	v_mul_f64 v[0:1], v[98:99], v[0:1]
	v_fma_f64 v[47:48], v[96:97], v[2:3], -v[0:1]
	ds_load_b128 v[0:3], v24 offset:17920
	s_waitcnt lgkmcnt(0)
	v_mul_f64 v[4:5], v[86:87], v[2:3]
	s_delay_alu instid0(VALU_DEP_1) | instskip(SKIP_1) | instid1(VALU_DEP_1)
	v_fma_f64 v[4:5], v[84:85], v[0:1], v[4:5]
	v_mul_f64 v[0:1], v[86:87], v[0:1]
	v_fma_f64 v[6:7], v[84:85], v[2:3], -v[0:1]
	ds_load_b128 v[0:3], v24 offset:19712
	s_waitcnt lgkmcnt(0)
	v_mul_f64 v[8:9], v[86:87], v[2:3]
	v_add_f64 v[10:11], v[14:15], v[6:7]
	s_delay_alu instid0(VALU_DEP_2) | instskip(SKIP_1) | instid1(VALU_DEP_1)
	v_fma_f64 v[49:50], v[84:85], v[0:1], v[8:9]
	v_mul_f64 v[0:1], v[86:87], v[0:1]
	v_fma_f64 v[51:52], v[84:85], v[2:3], -v[0:1]
	ds_load_b128 v[0:3], v24 offset:21504
	s_waitcnt lgkmcnt(0)
	v_mul_f64 v[8:9], v[86:87], v[2:3]
	s_delay_alu instid0(VALU_DEP_1) | instskip(SKIP_1) | instid1(VALU_DEP_1)
	v_fma_f64 v[53:54], v[84:85], v[0:1], v[8:9]
	v_mul_f64 v[0:1], v[86:87], v[0:1]
	v_fma_f64 v[88:89], v[84:85], v[2:3], -v[0:1]
	ds_load_b128 v[0:3], v24 offset:23296
	s_waitcnt lgkmcnt(0)
	v_mul_f64 v[8:9], v[86:87], v[2:3]
	s_delay_alu instid0(VALU_DEP_1) | instskip(SKIP_1) | instid1(VALU_DEP_1)
	v_fma_f64 v[90:91], v[84:85], v[0:1], v[8:9]
	v_mul_f64 v[0:1], v[86:87], v[0:1]
	v_fma_f64 v[92:93], v[84:85], v[2:3], -v[0:1]
	ds_load_b128 v[0:3], v24 offset:25088
	s_waitcnt lgkmcnt(0)
	v_mul_f64 v[8:9], v[86:87], v[2:3]
	s_delay_alu instid0(VALU_DEP_1) | instskip(SKIP_2) | instid1(VALU_DEP_2)
	v_fma_f64 v[94:95], v[84:85], v[0:1], v[8:9]
	v_mul_f64 v[0:1], v[86:87], v[0:1]
	v_add_f64 v[8:9], v[12:13], v[4:5]
	v_fma_f64 v[84:85], v[84:85], v[2:3], -v[0:1]
	ds_load_b128 v[0:3], v24
	s_waitcnt lgkmcnt(0)
	v_fma_f64 v[8:9], v[8:9], -0.5, v[0:1]
	v_fma_f64 v[10:11], v[10:11], -0.5, v[2:3]
	v_add_f64 v[2:3], v[2:3], v[14:15]
	v_add_f64 v[0:1], v[0:1], v[12:13]
	v_add_f64 v[14:15], v[14:15], -v[6:7]
	v_add_f64 v[12:13], v[12:13], -v[4:5]
	s_delay_alu instid0(VALU_DEP_4) | instskip(NEXT) | instid1(VALU_DEP_4)
	v_add_f64 v[2:3], v[2:3], v[6:7]
	v_add_f64 v[0:1], v[0:1], v[4:5]
	s_delay_alu instid0(VALU_DEP_4)
	v_fma_f64 v[4:5], v[14:15], s[2:3], v[8:9]
	v_fma_f64 v[8:9], v[14:15], s[10:11], v[8:9]
	;; [unrolled: 1-line block ×4, first 2 shown]
	ds_load_b128 v[12:15], v24 offset:7168
	ds_load_b128 v[16:19], v24 offset:1792
	;; [unrolled: 1-line block ×4, first 2 shown]
	s_waitcnt lgkmcnt(0)
	s_barrier
	buffer_gl0_inv
	scratch_load_b32 v27, off, off offset:364 ; 4-byte Folded Reload
	s_waitcnt vmcnt(0)
	ds_store_b128 v27, v[0:3]
	ds_store_b128 v27, v[4:7] offset:256
	ds_store_b128 v27, v[8:11] offset:512
	v_add_f64 v[0:1], v[33:34], v[49:50]
	v_add_f64 v[4:5], v[16:17], v[33:34]
	v_add_f64 v[8:9], v[35:36], -v[51:52]
	s_delay_alu instid0(VALU_DEP_3) | instskip(SKIP_2) | instid1(VALU_DEP_2)
	v_fma_f64 v[6:7], v[0:1], -0.5, v[16:17]
	v_add_f64 v[0:1], v[35:36], v[51:52]
	v_add_f64 v[16:17], v[33:34], -v[49:50]
	v_fma_f64 v[10:11], v[0:1], -0.5, v[18:19]
	v_add_f64 v[0:1], v[18:19], v[35:36]
	s_delay_alu instid0(VALU_DEP_1)
	v_add_f64 v[2:3], v[0:1], v[51:52]
	v_add_f64 v[0:1], v[4:5], v[49:50]
	v_fma_f64 v[4:5], v[8:9], s[2:3], v[6:7]
	v_fma_f64 v[8:9], v[8:9], s[10:11], v[6:7]
	;; [unrolled: 1-line block ×4, first 2 shown]
	scratch_load_b32 v16, off, off offset:336 ; 4-byte Folded Reload
	s_waitcnt vmcnt(0)
	ds_store_b128 v16, v[0:3]
	ds_store_b128 v16, v[4:7] offset:256
	ds_store_b128 v16, v[8:11] offset:512
	scratch_load_b32 v27, off, off offset:284 ; 4-byte Folded Reload
	v_add_f64 v[0:1], v[37:38], v[53:54]
	v_add_f64 v[4:5], v[20:21], v[37:38]
	v_add_f64 v[8:9], v[39:40], -v[88:89]
	v_add_f64 v[16:17], v[37:38], -v[53:54]
	s_delay_alu instid0(VALU_DEP_4) | instskip(SKIP_2) | instid1(VALU_DEP_2)
	v_fma_f64 v[6:7], v[0:1], -0.5, v[20:21]
	v_add_f64 v[0:1], v[39:40], v[88:89]
	v_add_f64 v[20:21], v[29:30], v[41:42]
	v_fma_f64 v[10:11], v[0:1], -0.5, v[22:23]
	v_add_f64 v[0:1], v[22:23], v[39:40]
	v_add_f64 v[39:40], v[47:48], -v[84:85]
	s_delay_alu instid0(VALU_DEP_2)
	v_add_f64 v[2:3], v[0:1], v[88:89]
	v_add_f64 v[0:1], v[4:5], v[53:54]
	v_fma_f64 v[4:5], v[8:9], s[2:3], v[6:7]
	v_fma_f64 v[8:9], v[8:9], s[10:11], v[6:7]
	v_fma_f64 v[6:7], v[16:17], s[10:11], v[10:11]
	v_fma_f64 v[10:11], v[16:17], s[2:3], v[10:11]
	v_add_f64 v[16:17], v[41:42], v[90:91]
	s_waitcnt vmcnt(0)
	ds_store_b128 v27, v[0:3]
	ds_store_b128 v27, v[4:7] offset:256
	ds_store_b128 v27, v[8:11] offset:512
	scratch_load_b32 v0, off, off offset:256 ; 4-byte Folded Reload
	v_fma_f64 v[22:23], v[16:17], -0.5, v[29:30]
	v_add_f64 v[16:17], v[43:44], v[92:93]
	v_add_f64 v[29:30], v[43:44], -v[92:93]
	s_delay_alu instid0(VALU_DEP_2) | instskip(SKIP_3) | instid1(VALU_DEP_3)
	v_fma_f64 v[33:34], v[16:17], -0.5, v[31:32]
	v_add_f64 v[16:17], v[31:32], v[43:44]
	v_add_f64 v[31:32], v[41:42], -v[90:91]
	v_add_f64 v[41:42], v[45:46], -v[94:95]
	v_add_f64 v[18:19], v[16:17], v[92:93]
	v_add_f64 v[16:17], v[20:21], v[90:91]
	v_fma_f64 v[20:21], v[29:30], s[2:3], v[22:23]
	v_fma_f64 v[29:30], v[29:30], s[10:11], v[22:23]
	;; [unrolled: 1-line block ×4, first 2 shown]
	v_add_f64 v[33:34], v[45:46], v[94:95]
	s_waitcnt vmcnt(0)
	ds_store_b128 v0, v[16:19]
	ds_store_b128 v0, v[20:23] offset:256
	ds_store_b128 v0, v[29:32] offset:512
	scratch_load_b32 v0, off, off offset:240 ; 4-byte Folded Reload
	v_fma_f64 v[35:36], v[33:34], -0.5, v[12:13]
	v_add_f64 v[33:34], v[47:48], v[84:85]
	v_add_f64 v[12:13], v[12:13], v[45:46]
	s_delay_alu instid0(VALU_DEP_2) | instskip(SKIP_1) | instid1(VALU_DEP_3)
	v_fma_f64 v[37:38], v[33:34], -0.5, v[14:15]
	v_add_f64 v[14:15], v[14:15], v[47:48]
	v_add_f64 v[12:13], v[12:13], v[94:95]
	v_fma_f64 v[33:34], v[39:40], s[2:3], v[35:36]
	s_delay_alu instid0(VALU_DEP_4) | instskip(NEXT) | instid1(VALU_DEP_4)
	v_fma_f64 v[86:87], v[41:42], s[2:3], v[37:38]
	v_add_f64 v[14:15], v[14:15], v[84:85]
	v_fma_f64 v[84:85], v[39:40], s[10:11], v[35:36]
	v_fma_f64 v[35:36], v[41:42], s[10:11], v[37:38]
	s_waitcnt vmcnt(0)
	ds_store_b128 v0, v[12:15]
	ds_store_b128 v0, v[33:36] offset:256
	ds_store_b128 v0, v[84:87] offset:512
	s_waitcnt lgkmcnt(0)
	s_barrier
	buffer_gl0_inv
	ds_load_b128 v[92:95], v24
	ds_load_b128 v[88:91], v24 offset:1792
	ds_load_b128 v[252:255], v24 offset:3840
	;; [unrolled: 1-line block ×13, first 2 shown]
	s_and_saveexec_b32 s1, s0
	s_cbranch_execz .LBB0_43
; %bb.42:
	ds_load_b128 v[84:87], v24 offset:3584
	ds_load_b128 v[80:83], v24 offset:7424
	;; [unrolled: 1-line block ×7, first 2 shown]
.LBB0_43:
	s_or_b32 exec_lo, exec_lo, s1
	s_waitcnt lgkmcnt(11)
	v_mul_f64 v[4:5], v[102:103], v[254:255]
	s_mov_b32 s16, 0xe976ee23
	s_mov_b32 s17, 0x3fe11646
	;; [unrolled: 1-line block ×20, first 2 shown]
	s_waitcnt lgkmcnt(0)
	s_barrier
	buffer_gl0_inv
	v_fma_f64 v[8:9], v[100:101], v[252:253], v[4:5]
	v_mul_f64 v[4:5], v[102:103], v[252:253]
	s_delay_alu instid0(VALU_DEP_1) | instskip(SKIP_1) | instid1(VALU_DEP_1)
	v_fma_f64 v[10:11], v[100:101], v[254:255], -v[4:5]
	v_mul_f64 v[4:5], v[106:107], v[250:251]
	v_fma_f64 v[12:13], v[104:105], v[248:249], v[4:5]
	v_mul_f64 v[4:5], v[106:107], v[248:249]
	s_delay_alu instid0(VALU_DEP_1) | instskip(SKIP_1) | instid1(VALU_DEP_1)
	v_fma_f64 v[14:15], v[104:105], v[250:251], -v[4:5]
	v_mul_f64 v[4:5], v[110:111], v[2:3]
	v_fma_f64 v[16:17], v[108:109], v[0:1], v[4:5]
	v_mul_f64 v[0:1], v[110:111], v[0:1]
	s_delay_alu instid0(VALU_DEP_1) | instskip(SKIP_1) | instid1(VALU_DEP_2)
	v_fma_f64 v[18:19], v[108:109], v[2:3], -v[0:1]
	v_mul_f64 v[0:1], v[114:115], v[246:247]
	v_add_f64 v[110:111], v[10:11], v[18:19]
	s_delay_alu instid0(VALU_DEP_2) | instskip(SKIP_2) | instid1(VALU_DEP_3)
	v_fma_f64 v[20:21], v[112:113], v[244:245], v[0:1]
	v_mul_f64 v[0:1], v[114:115], v[244:245]
	v_add_f64 v[18:19], v[10:11], -v[18:19]
	v_add_f64 v[104:105], v[12:13], v[20:21]
	s_delay_alu instid0(VALU_DEP_3) | instskip(SKIP_2) | instid1(VALU_DEP_3)
	v_fma_f64 v[22:23], v[112:113], v[246:247], -v[0:1]
	v_mul_f64 v[0:1], v[118:119], v[238:239]
	v_add_f64 v[12:13], v[12:13], -v[20:21]
	v_add_f64 v[112:113], v[14:15], v[22:23]
	s_delay_alu instid0(VALU_DEP_3) | instskip(SKIP_1) | instid1(VALU_DEP_1)
	v_fma_f64 v[37:38], v[116:117], v[236:237], v[0:1]
	v_mul_f64 v[0:1], v[118:119], v[236:237]
	v_fma_f64 v[39:40], v[116:117], v[238:239], -v[0:1]
	v_mul_f64 v[0:1], v[126:127], v[234:235]
	s_delay_alu instid0(VALU_DEP_1) | instskip(SKIP_1) | instid1(VALU_DEP_1)
	v_fma_f64 v[41:42], v[124:125], v[232:233], v[0:1]
	v_mul_f64 v[0:1], v[126:127], v[232:233]
	v_fma_f64 v[43:44], v[124:125], v[234:235], -v[0:1]
	v_mul_f64 v[0:1], v[130:131], v[242:243]
	s_delay_alu instid0(VALU_DEP_1) | instskip(SKIP_1) | instid1(VALU_DEP_1)
	;; [unrolled: 5-line block ×3, first 2 shown]
	v_fma_f64 v[49:50], v[132:133], v[228:229], v[0:1]
	v_mul_f64 v[0:1], v[134:135], v[228:229]
	v_fma_f64 v[51:52], v[132:133], v[230:231], -v[0:1]
	v_mul_f64 v[0:1], v[138:139], v[226:227]
	s_delay_alu instid0(VALU_DEP_2) | instskip(NEXT) | instid1(VALU_DEP_2)
	v_add_f64 v[124:125], v[43:44], v[51:52]
	v_fma_f64 v[29:30], v[136:137], v[224:225], v[0:1]
	v_mul_f64 v[0:1], v[138:139], v[224:225]
	s_delay_alu instid0(VALU_DEP_1) | instskip(SKIP_1) | instid1(VALU_DEP_1)
	v_fma_f64 v[31:32], v[136:137], v[226:227], -v[0:1]
	v_mul_f64 v[0:1], v[142:143], v[222:223]
	v_fma_f64 v[33:34], v[140:141], v[220:221], v[0:1]
	v_mul_f64 v[0:1], v[142:143], v[220:221]
	s_delay_alu instid0(VALU_DEP_2) | instskip(NEXT) | instid1(VALU_DEP_2)
	v_add_f64 v[106:107], v[29:30], v[33:34]
	v_fma_f64 v[35:36], v[140:141], v[222:223], -v[0:1]
	v_mul_f64 v[0:1], v[122:123], v[218:219]
	v_add_f64 v[20:21], v[33:34], -v[29:30]
	s_delay_alu instid0(VALU_DEP_4) | instskip(NEXT) | instid1(VALU_DEP_4)
	v_add_f64 v[33:34], v[106:107], -v[104:105]
	v_add_f64 v[114:115], v[31:32], v[35:36]
	s_delay_alu instid0(VALU_DEP_4) | instskip(SKIP_4) | instid1(VALU_DEP_4)
	v_fma_f64 v[53:54], v[120:121], v[216:217], v[0:1]
	v_mul_f64 v[0:1], v[122:123], v[216:217]
	v_add_f64 v[122:123], v[39:40], v[47:48]
	v_add_f64 v[10:11], v[20:21], -v[12:13]
	v_add_f64 v[47:48], v[39:40], -v[47:48]
	v_fma_f64 v[100:101], v[120:121], v[218:219], -v[0:1]
	v_mul_f64 v[0:1], v[146:147], v[98:99]
	s_delay_alu instid0(VALU_DEP_1) | instskip(SKIP_1) | instid1(VALU_DEP_2)
	v_fma_f64 v[102:103], v[144:145], v[96:97], v[0:1]
	v_mul_f64 v[0:1], v[146:147], v[96:97]
	v_add_f64 v[118:119], v[53:54], v[102:103]
	s_delay_alu instid0(VALU_DEP_2)
	v_fma_f64 v[96:97], v[144:145], v[98:99], -v[0:1]
	v_add_f64 v[98:99], v[8:9], v[16:17]
	v_add_f64 v[16:17], v[8:9], -v[16:17]
	v_add_f64 v[8:9], v[14:15], -v[22:23]
	;; [unrolled: 1-line block ×3, first 2 shown]
	v_add_f64 v[126:127], v[100:101], v[96:97]
	v_add_f64 v[0:1], v[104:105], v[98:99]
	v_add_f64 v[29:30], v[12:13], -v[16:17]
	v_add_f64 v[12:13], v[20:21], v[12:13]
	v_add_f64 v[14:15], v[22:23], -v[8:9]
	v_add_f64 v[31:32], v[8:9], -v[18:19]
	v_add_f64 v[8:9], v[22:23], v[8:9]
	v_add_f64 v[35:36], v[104:105], -v[98:99]
	v_mul_f64 v[104:105], v[10:11], s[16:17]
	v_add_f64 v[98:99], v[98:99], -v[106:107]
	v_add_f64 v[108:109], v[106:107], v[0:1]
	v_add_f64 v[0:1], v[112:113], v[110:111]
	;; [unrolled: 1-line block ×3, first 2 shown]
	v_add_f64 v[106:107], v[110:111], -v[114:115]
	v_add_f64 v[132:133], v[8:9], v[18:19]
	v_mul_f64 v[8:9], v[33:34], s[14:15]
	v_fma_f64 v[12:13], v[29:30], s[10:11], -v[104:105]
	v_add_f64 v[116:117], v[114:115], v[0:1]
	v_add_f64 v[0:1], v[92:93], v[108:109]
	;; [unrolled: 1-line block ×3, first 2 shown]
	v_add_f64 v[45:46], v[37:38], -v[45:46]
	v_add_f64 v[37:38], v[43:44], -v[51:52]
	v_fma_f64 v[8:9], v[35:36], s[2:3], -v[8:9]
	v_add_f64 v[43:44], v[96:97], -v[100:101]
	v_add_f64 v[2:3], v[94:95], v[116:117]
	v_add_f64 v[94:95], v[41:42], v[49:50]
	v_fma_f64 v[108:109], v[108:109], s[12:13], v[0:1]
	v_add_f64 v[41:42], v[41:42], -v[49:50]
	v_add_f64 v[49:50], v[102:103], -v[53:54]
	v_add_f64 v[96:97], v[37:38], -v[47:48]
	v_add_f64 v[53:54], v[43:44], -v[37:38]
	v_add_f64 v[37:38], v[43:44], v[37:38]
	v_add_f64 v[102:103], v[126:127], -v[124:125]
	v_add_f64 v[43:44], v[47:48], -v[43:44]
	v_fma_f64 v[116:117], v[116:117], s[12:13], v[2:3]
	v_add_f64 v[4:5], v[94:95], v[92:93]
	v_add_f64 v[100:101], v[118:119], -v[94:95]
	v_add_f64 v[51:52], v[41:42], -v[45:46]
	;; [unrolled: 1-line block ×3, first 2 shown]
	v_add_f64 v[41:42], v[49:50], v[41:42]
	v_add_f64 v[94:95], v[94:95], -v[92:93]
	v_mul_f64 v[53:54], v[53:54], s[16:17]
	v_add_f64 v[134:135], v[8:9], v[108:109]
	v_add_f64 v[92:93], v[92:93], -v[118:119]
	v_add_f64 v[120:121], v[118:119], v[4:5]
	v_add_f64 v[4:5], v[124:125], v[122:123]
	v_add_f64 v[41:42], v[41:42], v[45:46]
	v_add_f64 v[45:46], v[45:46], -v[49:50]
	v_mul_f64 v[49:50], v[96:97], s[10:11]
	s_delay_alu instid0(VALU_DEP_4)
	v_add_f64 v[128:129], v[126:127], v[4:5]
	v_add_f64 v[4:5], v[88:89], v[120:121]
	v_add_f64 v[88:89], v[114:115], -v[112:113]
	v_add_f64 v[114:115], v[18:19], -v[22:23]
	v_mul_f64 v[18:19], v[31:32], s[10:11]
	v_fma_f64 v[49:50], v[43:44], s[24:25], -v[49:50]
	v_fma_f64 v[43:44], v[43:44], s[22:23], v[53:54]
	v_add_f64 v[6:7], v[90:91], v[128:129]
	v_add_f64 v[90:91], v[112:113], -v[110:111]
	v_mul_f64 v[112:113], v[14:15], s[16:17]
	v_add_f64 v[110:111], v[16:17], -v[20:21]
	v_mul_f64 v[16:17], v[29:30], s[10:11]
	v_mul_f64 v[29:30], v[98:99], s[26:27]
	;; [unrolled: 1-line block ×3, first 2 shown]
	v_fma_f64 v[14:15], v[130:131], s[18:19], v[12:13]
	v_fma_f64 v[18:19], v[114:115], s[24:25], -v[18:19]
	v_add_f64 v[98:99], v[124:125], -v[122:123]
	v_fma_f64 v[12:13], v[31:32], s[10:11], -v[112:113]
	v_mul_f64 v[31:32], v[106:107], s[26:27]
	v_fma_f64 v[16:17], v[110:111], s[24:25], -v[16:17]
	v_fma_f64 v[20:21], v[35:36], s[20:21], -v[29:30]
	;; [unrolled: 1-line block ×3, first 2 shown]
	v_fma_f64 v[29:30], v[33:34], s[14:15], v[29:30]
	v_add_f64 v[106:107], v[37:38], v[47:48]
	v_mul_f64 v[37:38], v[100:101], s[14:15]
	v_mul_f64 v[47:48], v[51:52], s[10:11]
	v_fma_f64 v[12:13], v[132:133], s[18:19], v[12:13]
	v_fma_f64 v[22:23], v[90:91], s[20:21], -v[31:32]
	v_fma_f64 v[90:91], v[132:133], s[18:19], v[18:19]
	v_add_f64 v[20:21], v[20:21], v[108:109]
	v_fma_f64 v[35:36], v[130:131], s[18:19], v[16:17]
	v_fma_f64 v[31:32], v[88:89], s[14:15], v[31:32]
	v_add_f64 v[88:89], v[29:30], v[108:109]
	v_fma_f64 v[37:38], v[94:95], s[2:3], -v[37:38]
	v_fma_f64 v[108:109], v[120:121], s[12:13], v[4:5]
	v_fma_f64 v[47:48], v[45:46], s[24:25], -v[47:48]
	v_fma_f64 v[49:50], v[106:107], s[18:19], v[49:50]
	v_add_f64 v[136:137], v[10:11], v[116:117]
	v_fma_f64 v[43:44], v[106:107], s[18:19], v[43:44]
	v_add_f64 v[8:9], v[134:135], -v[12:13]
	v_add_f64 v[22:23], v[22:23], v[116:117]
	v_add_f64 v[12:13], v[12:13], v[134:135]
	v_add_f64 v[16:17], v[90:91], v[20:21]
	v_add_f64 v[20:21], v[20:21], -v[90:91]
	v_fma_f64 v[90:91], v[114:115], s[22:23], v[112:113]
	v_add_f64 v[112:113], v[37:38], v[108:109]
	v_fma_f64 v[47:48], v[41:42], s[18:19], v[47:48]
	v_add_f64 v[10:11], v[14:15], v[136:137]
	v_add_f64 v[14:15], v[136:137], -v[14:15]
	v_add_f64 v[18:19], v[22:23], -v[35:36]
	v_add_f64 v[22:23], v[35:36], v[22:23]
	v_fma_f64 v[35:36], v[110:111], s[22:23], v[104:105]
	v_mul_f64 v[104:105], v[39:40], s[16:17]
	v_fma_f64 v[33:34], v[132:133], s[18:19], v[90:91]
	v_add_f64 v[90:91], v[31:32], v[116:117]
	v_mul_f64 v[39:40], v[102:103], s[14:15]
	v_fma_f64 v[110:111], v[128:129], s[12:13], v[6:7]
	v_fma_f64 v[35:36], v[130:131], s[18:19], v[35:36]
	;; [unrolled: 1-line block ×3, first 2 shown]
	v_add_f64 v[29:30], v[33:34], v[88:89]
	v_add_f64 v[33:34], v[88:89], -v[33:34]
	v_fma_f64 v[88:89], v[51:52], s[10:11], -v[104:105]
	v_mul_f64 v[51:52], v[92:93], s[26:27]
	v_fma_f64 v[39:40], v[98:99], s[2:3], -v[39:40]
	v_add_f64 v[31:32], v[90:91], -v[35:36]
	v_add_f64 v[35:36], v[35:36], v[90:91]
	v_fma_f64 v[90:91], v[41:42], s[18:19], v[88:89]
	v_fma_f64 v[88:89], v[96:97], s[10:11], -v[53:54]
	v_fma_f64 v[92:93], v[94:95], s[20:21], -v[51:52]
	v_fma_f64 v[41:42], v[41:42], s[18:19], v[45:46]
	v_add_f64 v[114:115], v[39:40], v[110:111]
	s_delay_alu instid0(VALU_DEP_4) | instskip(NEXT) | instid1(VALU_DEP_4)
	v_fma_f64 v[88:89], v[106:107], s[18:19], v[88:89]
	v_add_f64 v[96:97], v[92:93], v[108:109]
	s_delay_alu instid0(VALU_DEP_3) | instskip(SKIP_1) | instid1(VALU_DEP_4)
	v_add_f64 v[39:40], v[90:91], v[114:115]
	v_add_f64 v[90:91], v[114:115], -v[90:91]
	v_add_f64 v[37:38], v[112:113], -v[88:89]
	v_add_f64 v[88:89], v[88:89], v[112:113]
	v_add_f64 v[112:113], v[122:123], -v[126:127]
	v_add_f64 v[92:93], v[49:50], v[96:97]
	v_add_f64 v[96:97], v[96:97], -v[49:50]
	s_delay_alu instid0(VALU_DEP_3) | instskip(NEXT) | instid1(VALU_DEP_1)
	v_mul_f64 v[112:113], v[112:113], s[26:27]
	v_fma_f64 v[94:95], v[98:99], s[20:21], -v[112:113]
	v_fma_f64 v[49:50], v[102:103], s[14:15], v[112:113]
	s_delay_alu instid0(VALU_DEP_2) | instskip(NEXT) | instid1(VALU_DEP_1)
	v_add_f64 v[98:99], v[94:95], v[110:111]
	v_add_f64 v[94:95], v[98:99], -v[47:48]
	v_add_f64 v[98:99], v[47:48], v[98:99]
	v_fma_f64 v[47:48], v[100:101], s[14:15], v[51:52]
	s_delay_alu instid0(VALU_DEP_1) | instskip(SKIP_1) | instid1(VALU_DEP_2)
	v_add_f64 v[45:46], v[47:48], v[108:109]
	v_add_f64 v[47:48], v[49:50], v[110:111]
	;; [unrolled: 1-line block ×3, first 2 shown]
	s_delay_alu instid0(VALU_DEP_2)
	v_add_f64 v[102:103], v[47:48], -v[41:42]
	v_add_f64 v[104:105], v[45:46], -v[43:44]
	v_add_f64 v[106:107], v[41:42], v[47:48]
	ds_store_b128 v28, v[0:3]
	ds_store_b128 v28, v[29:32] offset:768
	ds_store_b128 v28, v[16:19] offset:1536
	ds_store_b128 v28, v[8:11] offset:2304
	ds_store_b128 v28, v[12:15] offset:3072
	ds_store_b128 v28, v[20:23] offset:3840
	ds_store_b128 v28, v[33:36] offset:4608
	ds_store_b128 v26, v[4:7]
	ds_store_b128 v26, v[100:103] offset:768
	ds_store_b128 v26, v[92:95] offset:1536
	;; [unrolled: 1-line block ×6, first 2 shown]
	s_and_saveexec_b32 s1, s0
	s_cbranch_execz .LBB0_45
; %bb.44:
	v_mul_f64 v[0:1], v[66:67], v[196:197]
	v_mul_f64 v[2:3], v[58:59], v[80:81]
	;; [unrolled: 1-line block ×12, first 2 shown]
	v_fma_f64 v[0:1], v[64:65], v[198:199], -v[0:1]
	v_fma_f64 v[2:3], v[56:57], v[82:83], -v[2:3]
	v_fma_f64 v[4:5], v[68:69], v[178:179], -v[4:5]
	v_fma_f64 v[6:7], v[60:61], v[174:175], -v[6:7]
	v_fma_f64 v[8:9], v[56:57], v[80:81], v[8:9]
	v_fma_f64 v[10:11], v[64:65], v[196:197], v[10:11]
	;; [unrolled: 1-line block ×6, first 2 shown]
	v_fma_f64 v[20:21], v[72:73], v[166:167], -v[20:21]
	v_fma_f64 v[22:23], v[76:77], v[170:171], -v[22:23]
	v_add_f64 v[26:27], v[2:3], v[0:1]
	v_add_f64 v[28:29], v[6:7], v[4:5]
	v_add_f64 v[4:5], v[6:7], -v[4:5]
	v_add_f64 v[30:31], v[8:9], v[10:11]
	v_add_f64 v[8:9], v[8:9], -v[10:11]
	;; [unrolled: 2-line block ×3, first 2 shown]
	v_add_f64 v[34:35], v[16:17], -v[18:19]
	v_add_f64 v[16:17], v[18:19], v[16:17]
	v_add_f64 v[14:15], v[20:21], v[22:23]
	v_add_f64 v[18:19], v[22:23], -v[20:21]
	v_add_f64 v[6:7], v[2:3], -v[0:1]
	v_add_f64 v[10:11], v[28:29], v[26:27]
	v_add_f64 v[0:1], v[32:33], v[30:31]
	v_add_f64 v[36:37], v[12:13], -v[8:9]
	v_add_f64 v[2:3], v[34:35], -v[12:13]
	;; [unrolled: 1-line block ×7, first 2 shown]
	v_add_f64 v[12:13], v[34:35], v[12:13]
	v_add_f64 v[4:5], v[18:19], v[4:5]
	v_add_f64 v[18:19], v[6:7], -v[18:19]
	v_add_f64 v[26:27], v[28:29], -v[26:27]
	;; [unrolled: 1-line block ×3, first 2 shown]
	v_add_f64 v[10:11], v[14:15], v[10:11]
	v_add_f64 v[14:15], v[14:15], -v[28:29]
	v_add_f64 v[42:43], v[16:17], v[0:1]
	v_add_f64 v[16:17], v[16:17], -v[32:33]
	v_mul_f64 v[34:35], v[2:3], s[16:17]
	v_mul_f64 v[22:23], v[22:23], s[26:27]
	;; [unrolled: 1-line block ×6, first 2 shown]
	v_add_f64 v[8:9], v[12:13], v[8:9]
	v_add_f64 v[4:5], v[4:5], v[6:7]
	;; [unrolled: 1-line block ×3, first 2 shown]
	v_mul_f64 v[28:29], v[14:15], s[14:15]
	v_add_f64 v[0:1], v[84:85], v[42:43]
	v_mul_f64 v[32:33], v[16:17], s[14:15]
	v_fma_f64 v[6:7], v[44:45], s[22:23], v[34:35]
	v_fma_f64 v[34:35], v[36:37], s[10:11], -v[34:35]
	v_fma_f64 v[12:13], v[14:15], s[14:15], v[20:21]
	v_fma_f64 v[14:15], v[16:17], s[14:15], v[22:23]
	v_fma_f64 v[16:17], v[44:45], s[24:25], -v[46:47]
	v_fma_f64 v[20:21], v[26:27], s[20:21], -v[20:21]
	;; [unrolled: 1-line block ×4, first 2 shown]
	v_fma_f64 v[10:11], v[10:11], s[12:13], v[2:3]
	v_fma_f64 v[26:27], v[26:27], s[2:3], -v[28:29]
	v_fma_f64 v[28:29], v[18:19], s[22:23], v[38:39]
	v_fma_f64 v[18:19], v[18:19], s[24:25], -v[48:49]
	;; [unrolled: 2-line block ×3, first 2 shown]
	v_fma_f64 v[32:33], v[8:9], s[18:19], v[6:7]
	v_fma_f64 v[16:17], v[8:9], s[18:19], v[16:17]
	;; [unrolled: 1-line block ×3, first 2 shown]
	v_add_f64 v[12:13], v[12:13], v[10:11]
	v_add_f64 v[20:21], v[20:21], v[10:11]
	v_fma_f64 v[34:35], v[4:5], s[18:19], v[28:29]
	v_fma_f64 v[40:41], v[4:5], s[18:19], v[18:19]
	;; [unrolled: 1-line block ×3, first 2 shown]
	v_add_f64 v[30:31], v[30:31], v[38:39]
	v_add_f64 v[26:27], v[26:27], v[10:11]
	;; [unrolled: 1-line block ×6, first 2 shown]
	v_add_f64 v[22:23], v[20:21], -v[16:17]
	v_add_f64 v[28:29], v[12:13], -v[32:33]
	;; [unrolled: 1-line block ×3, first 2 shown]
	v_add_f64 v[12:13], v[4:5], v[30:31]
	scratch_load_b32 v30, off, off offset:368 ; 4-byte Folded Reload
	v_add_f64 v[14:15], v[26:27], -v[8:9]
	v_add_f64 v[18:19], v[8:9], v[26:27]
	v_add_f64 v[26:27], v[34:35], v[36:37]
	v_add_f64 v[20:21], v[40:41], v[42:43]
	v_add_f64 v[8:9], v[42:43], -v[40:41]
	v_add_f64 v[4:5], v[36:37], -v[34:35]
	s_waitcnt vmcnt(0)
	v_lshlrev_b32_e32 v30, 4, v30
	ds_store_b128 v30, v[0:3] offset:21504
	ds_store_b128 v30, v[26:29] offset:22272
	;; [unrolled: 1-line block ×7, first 2 shown]
.LBB0_45:
	s_or_b32 exec_lo, exec_lo, s1
	s_waitcnt lgkmcnt(0)
	s_barrier
	buffer_gl0_inv
	ds_load_b128 v[0:3], v24 offset:5376
	ds_load_b128 v[4:7], v24 offset:10752
	;; [unrolled: 1-line block ×13, first 2 shown]
	s_mov_b32 s10, 0x134454ff
	s_mov_b32 s11, 0xbfee6f0e
	;; [unrolled: 1-line block ×7, first 2 shown]
	s_waitcnt lgkmcnt(12)
	v_mul_f64 v[44:45], v[150:151], v[0:1]
	s_waitcnt lgkmcnt(11)
	v_mul_f64 v[46:47], v[158:159], v[6:7]
	v_mul_f64 v[48:49], v[158:159], v[4:5]
	s_waitcnt lgkmcnt(10)
	v_mul_f64 v[50:51], v[154:155], v[10:11]
	;; [unrolled: 3-line block ×3, first 2 shown]
	v_mul_f64 v[42:43], v[150:151], v[2:3]
	v_mul_f64 v[54:55], v[162:163], v[14:15]
	s_waitcnt lgkmcnt(8)
	v_mul_f64 v[70:71], v[182:183], v[18:19]
	v_mul_f64 v[72:73], v[182:183], v[16:17]
	s_waitcnt lgkmcnt(7)
	v_mul_f64 v[74:75], v[186:187], v[22:23]
	v_mul_f64 v[76:77], v[186:187], v[20:21]
	s_waitcnt lgkmcnt(6)
	v_mul_f64 v[78:79], v[190:191], v[28:29]
	v_mul_f64 v[80:81], v[190:191], v[26:27]
	s_waitcnt lgkmcnt(5)
	v_mul_f64 v[82:83], v[194:195], v[32:33]
	v_mul_f64 v[84:85], v[194:195], v[30:31]
	s_waitcnt lgkmcnt(3)
	v_mul_f64 v[86:87], v[202:203], v[40:41]
	v_mul_f64 v[88:89], v[202:203], v[38:39]
	s_waitcnt lgkmcnt(2)
	v_mul_f64 v[90:91], v[206:207], v[58:59]
	v_mul_f64 v[92:93], v[206:207], v[56:57]
	s_waitcnt lgkmcnt(1)
	v_mul_f64 v[94:95], v[210:211], v[62:63]
	v_mul_f64 v[96:97], v[210:211], v[60:61]
	s_waitcnt lgkmcnt(0)
	v_mul_f64 v[98:99], v[214:215], v[66:67]
	v_mul_f64 v[100:101], v[214:215], v[64:65]
	s_mov_b32 s2, s0
	v_fma_f64 v[44:45], v[148:149], v[2:3], -v[44:45]
	v_fma_f64 v[46:47], v[156:157], v[4:5], v[46:47]
	v_fma_f64 v[48:49], v[156:157], v[6:7], -v[48:49]
	v_fma_f64 v[8:9], v[152:153], v[8:9], v[50:51]
	v_fma_f64 v[10:11], v[152:153], v[10:11], -v[52:53]
	v_fma_f64 v[14:15], v[160:161], v[14:15], -v[68:69]
	v_fma_f64 v[42:43], v[148:149], v[0:1], v[42:43]
	v_fma_f64 v[12:13], v[160:161], v[12:13], v[54:55]
	;; [unrolled: 1-line block ×3, first 2 shown]
	v_fma_f64 v[18:19], v[180:181], v[18:19], -v[72:73]
	v_fma_f64 v[20:21], v[184:185], v[20:21], v[74:75]
	v_fma_f64 v[22:23], v[184:185], v[22:23], -v[76:77]
	v_fma_f64 v[26:27], v[188:189], v[26:27], v[78:79]
	;; [unrolled: 2-line block ×7, first 2 shown]
	v_fma_f64 v[60:61], v[212:213], v[66:67], -v[100:101]
	ds_load_b128 v[0:3], v24
	ds_load_b128 v[4:7], v24 offset:1792
	v_add_f64 v[104:105], v[44:45], -v[48:49]
	v_add_f64 v[62:63], v[46:47], v[8:9]
	v_add_f64 v[70:71], v[48:49], v[10:11]
	;; [unrolled: 1-line block ×3, first 2 shown]
	s_waitcnt lgkmcnt(1)
	v_add_f64 v[64:65], v[0:1], v[42:43]
	v_add_f64 v[66:67], v[42:43], v[12:13]
	v_add_f64 v[68:69], v[44:45], -v[14:15]
	v_add_f64 v[76:77], v[42:43], -v[46:47]
	;; [unrolled: 1-line block ×4, first 2 shown]
	v_add_f64 v[78:79], v[20:21], v[26:27]
	v_add_f64 v[88:89], v[22:23], v[28:29]
	;; [unrolled: 1-line block ×4, first 2 shown]
	v_add_f64 v[90:91], v[8:9], -v[12:13]
	v_add_f64 v[92:93], v[2:3], v[44:45]
	v_add_f64 v[102:103], v[46:47], -v[8:9]
	v_add_f64 v[106:107], v[14:15], -v[10:11]
	v_add_f64 v[94:95], v[50:51], v[54:55]
	v_add_f64 v[96:97], v[52:53], v[56:57]
	;; [unrolled: 1-line block ×4, first 2 shown]
	s_waitcnt lgkmcnt(0)
	v_add_f64 v[110:111], v[4:5], v[16:17]
	v_add_f64 v[124:125], v[6:7], v[18:19]
	;; [unrolled: 1-line block ×3, first 2 shown]
	v_add_f64 v[72:73], v[48:49], -v[10:11]
	v_add_f64 v[42:43], v[42:43], -v[12:13]
	;; [unrolled: 1-line block ×10, first 2 shown]
	v_add_f64 v[128:129], v[34:35], v[38:39]
	v_add_f64 v[134:135], v[40:41], -v[60:61]
	v_add_f64 v[136:137], v[38:39], -v[58:59]
	;; [unrolled: 1-line block ×3, first 2 shown]
	v_fma_f64 v[62:63], v[62:63], -0.5, v[0:1]
	v_fma_f64 v[70:71], v[70:71], -0.5, v[2:3]
	;; [unrolled: 1-line block ×3, first 2 shown]
	v_add_f64 v[132:133], v[18:19], -v[22:23]
	v_fma_f64 v[0:1], v[66:67], -0.5, v[0:1]
	v_add_f64 v[18:19], v[22:23], -v[18:19]
	v_add_f64 v[74:75], v[28:29], -v[32:33]
	;; [unrolled: 1-line block ×4, first 2 shown]
	v_fma_f64 v[78:79], v[78:79], -0.5, v[4:5]
	v_add_f64 v[46:47], v[64:65], v[46:47]
	v_fma_f64 v[4:5], v[82:83], -0.5, v[4:5]
	v_add_f64 v[82:83], v[52:53], -v[56:57]
	v_fma_f64 v[86:87], v[86:87], -0.5, v[6:7]
	v_fma_f64 v[6:7], v[88:89], -0.5, v[6:7]
	v_add_f64 v[64:65], v[76:77], v[80:81]
	v_add_f64 v[76:77], v[84:85], v[90:91]
	v_fma_f64 v[94:95], v[94:95], -0.5, v[34:35]
	v_fma_f64 v[96:97], v[96:97], -0.5, v[36:37]
	;; [unrolled: 1-line block ×4, first 2 shown]
	v_add_f64 v[80:81], v[104:105], v[106:107]
	v_add_f64 v[20:21], v[110:111], v[20:21]
	;; [unrolled: 1-line block ×4, first 2 shown]
	v_add_f64 v[118:119], v[30:31], -v[26:27]
	v_add_f64 v[122:123], v[26:27], -v[30:31]
	v_add_f64 v[88:89], v[38:39], -v[50:51]
	v_add_f64 v[98:99], v[58:59], -v[54:55]
	v_add_f64 v[38:39], v[50:51], -v[38:39]
	v_add_f64 v[100:101], v[54:55], -v[58:59]
	v_add_f64 v[144:145], v[56:57], -v[60:61]
	v_add_f64 v[48:49], v[92:93], v[48:49]
	v_add_f64 v[44:45], v[44:45], v[108:109]
	;; [unrolled: 1-line block ×3, first 2 shown]
	v_add_f64 v[66:67], v[32:33], -v[28:29]
	v_add_f64 v[142:143], v[60:61], -v[56:57]
	v_fma_f64 v[84:85], v[68:69], s[10:11], v[62:63]
	v_fma_f64 v[62:63], v[68:69], s[12:13], v[62:63]
	;; [unrolled: 1-line block ×8, first 2 shown]
	v_add_f64 v[74:75], v[18:19], v[74:75]
	v_fma_f64 v[106:107], v[112:113], s[10:11], v[78:79]
	v_fma_f64 v[78:79], v[112:113], s[12:13], v[78:79]
	v_fma_f64 v[108:109], v[114:115], s[12:13], v[4:5]
	v_add_f64 v[8:9], v[46:47], v[8:9]
	v_fma_f64 v[110:111], v[126:127], s[10:11], v[86:87]
	v_fma_f64 v[124:125], v[16:17], s[12:13], v[6:7]
	;; [unrolled: 1-line block ×10, first 2 shown]
	v_add_f64 v[18:19], v[20:21], v[26:27]
	v_add_f64 v[20:21], v[22:23], v[28:29]
	;; [unrolled: 1-line block ×6, first 2 shown]
	v_fma_f64 v[4:5], v[114:115], s[10:11], v[4:5]
	v_add_f64 v[98:99], v[38:39], v[100:101]
	v_add_f64 v[120:121], v[40:41], v[144:145]
	;; [unrolled: 1-line block ×3, first 2 shown]
	v_fma_f64 v[94:95], v[134:135], s[12:13], v[94:95]
	v_add_f64 v[22:23], v[50:51], v[54:55]
	v_fma_f64 v[34:35], v[82:83], s[10:11], v[34:35]
	v_add_f64 v[66:67], v[132:133], v[66:67]
	v_add_f64 v[100:101], v[140:141], v[142:143]
	v_fma_f64 v[28:29], v[72:73], s[0:1], v[84:85]
	v_fma_f64 v[38:39], v[72:73], s[2:3], v[62:63]
	;; [unrolled: 1-line block ×8, first 2 shown]
	s_mul_hi_u32 s10, s4, 0x348
	v_fma_f64 v[54:55], v[114:115], s[0:1], v[106:107]
	v_fma_f64 v[56:57], v[114:115], s[2:3], v[78:79]
	;; [unrolled: 1-line block ×3, first 2 shown]
	v_add_f64 v[0:1], v[8:9], v[12:13]
	v_fma_f64 v[70:71], v[16:17], s[2:3], v[110:111]
	v_fma_f64 v[72:73], v[126:127], s[2:3], v[124:125]
	;; [unrolled: 1-line block ×7, first 2 shown]
	s_mul_hi_u32 s12, s4, 0xfffffd28
	v_fma_f64 v[104:105], v[136:137], s[0:1], v[36:37]
	v_fma_f64 v[96:97], v[138:139], s[0:1], v[96:97]
	s_mov_b32 s0, 0x372fe950
	s_mov_b32 s1, 0x3fd3c6ef
	v_add_f64 v[6:7], v[20:21], v[32:33]
	s_mul_i32 s11, s5, 0xfffffd28
	v_fma_f64 v[68:69], v[112:113], s[2:3], v[4:5]
	v_add_f64 v[4:5], v[18:19], v[30:31]
	v_add_f64 v[2:3], v[10:11], v[14:15]
	v_fma_f64 v[82:83], v[82:83], s[2:3], v[94:95]
	v_fma_f64 v[94:95], v[136:137], s[2:3], v[148:149]
	v_fma_f64 v[102:103], v[134:135], s[2:3], v[34:35]
	v_add_f64 v[8:9], v[22:23], v[58:59]
	v_add_f64 v[10:11], v[26:27], v[60:61]
	v_fma_f64 v[12:13], v[64:65], s[0:1], v[28:29]
	v_fma_f64 v[16:17], v[64:65], s[0:1], v[38:39]
	;; [unrolled: 1-line block ×4, first 2 shown]
	scratch_load_b64 v[42:43], off, off offset:56 ; 8-byte Folded Reload
	v_fma_f64 v[20:21], v[76:77], s[0:1], v[40:41]
	v_fma_f64 v[18:19], v[80:81], s[0:1], v[50:51]
	;; [unrolled: 1-line block ×7, first 2 shown]
	v_mad_u64_u32 v[44:45], null, s4, v25, 0
	v_fma_f64 v[40:41], v[74:75], s[0:1], v[70:71]
	v_fma_f64 v[36:37], v[66:67], s[0:1], v[78:79]
	v_fma_f64 v[32:33], v[66:67], s[0:1], v[72:73]
	v_fma_f64 v[60:61], v[88:89], s[0:1], v[86:87]
	v_fma_f64 v[62:63], v[100:101], s[0:1], v[90:91]
	v_fma_f64 v[58:59], v[74:75], s[0:1], v[84:85]
	s_mov_b32 s2, 0x13813814
	v_fma_f64 v[74:75], v[120:121], s[0:1], v[104:105]
	v_fma_f64 v[66:67], v[100:101], s[0:1], v[96:97]
	s_mov_b32 s3, 0x3f438138
	v_fma_f64 v[56:57], v[118:119], s[0:1], v[68:69]
	v_fma_f64 v[68:69], v[98:99], s[0:1], v[92:93]
	;; [unrolled: 1-line block ×5, first 2 shown]
	ds_store_b128 v24, v[0:3]
	ds_store_b128 v24, v[4:7] offset:1792
	ds_store_b128 v24, v[20:23] offset:10752
	;; [unrolled: 1-line block ×14, first 2 shown]
	s_waitcnt vmcnt(0) lgkmcnt(0)
	s_barrier
	buffer_gl0_inv
	ds_load_b128 v[0:3], v24
	ds_load_b128 v[8:11], v24 offset:1792
	ds_load_b128 v[4:7], v24 offset:13440
	s_mul_i32 s1, s5, 0x348
	s_mul_i32 s0, s4, 0x348
	s_add_i32 s1, s10, s1
	v_mov_b32_e32 v46, v42
	s_delay_alu instid0(VALU_DEP_1) | instskip(SKIP_2) | instid1(VALU_DEP_1)
	v_mad_u64_u32 v[42:43], null, s6, v46, 0
	s_mul_i32 s6, s4, 0xfffffd28
	s_sub_i32 s4, s12, s4
	v_mad_u64_u32 v[12:13], null, s7, v46, v[43:44]
	s_add_i32 s7, s4, s11
	s_delay_alu instid0(SALU_CYCLE_1) | instskip(NEXT) | instid1(VALU_DEP_1)
	s_lshl_b64 s[6:7], s[6:7], 4
	v_mov_b32_e32 v43, v12
	v_mad_u64_u32 v[16:17], null, s5, v25, v[45:46]
	ds_load_b128 v[12:15], v24 offset:15232
	s_lshl_b64 s[4:5], s[0:1], 4
	v_lshlrev_b64 v[41:42], 4, v[42:43]
	v_mov_b32_e32 v45, v16
	ds_load_b128 v[16:19], v24 offset:3584
	ds_load_b128 v[20:23], v24 offset:17024
	;; [unrolled: 1-line block ×4, first 2 shown]
	s_clause 0x1
	scratch_load_b128 v[117:120], off, off
	scratch_load_b128 v[139:142], off, off offset:144
	ds_load_b128 v[33:36], v24 offset:18816
	ds_load_b128 v[37:40], v24 offset:7168
	v_lshlrev_b64 v[43:44], 4, v[44:45]
	v_add_co_u32 v45, s0, s8, v41
	s_delay_alu instid0(VALU_DEP_1)
	v_add_co_ci_u32_e64 v116, s0, s9, v42, s0
	s_waitcnt vmcnt(1) lgkmcnt(9)
	v_mul_f64 v[46:47], v[119:120], v[2:3]
	v_mul_f64 v[48:49], v[119:120], v[0:1]
	scratch_load_b128 v[119:122], off, off offset:24 ; 16-byte Folded Reload
	ds_load_b128 v[56:59], v24 offset:20608
	ds_load_b128 v[60:63], v24 offset:8960
	scratch_load_b128 v[135:138], off, off offset:128 ; 16-byte Folded Reload
	ds_load_b128 v[64:67], v24 offset:22400
	ds_load_b128 v[68:71], v24 offset:24192
	scratch_load_b128 v[145:148], off, off offset:176 ; 16-byte Folded Reload
	s_waitcnt vmcnt(3) lgkmcnt(11)
	v_mul_f64 v[50:51], v[141:142], v[6:7]
	v_mul_f64 v[52:53], v[141:142], v[4:5]
	s_clause 0x1
	scratch_load_b128 v[129:132], off, off offset:96
	scratch_load_b128 v[141:144], off, off offset:160
	v_fma_f64 v[0:1], v[117:118], v[0:1], v[46:47]
	v_fma_f64 v[2:3], v[117:118], v[2:3], -v[48:49]
	v_fma_f64 v[4:5], v[139:140], v[4:5], v[50:51]
	v_fma_f64 v[6:7], v[139:140], v[6:7], -v[52:53]
	s_delay_alu instid0(VALU_DEP_4) | instskip(NEXT) | instid1(VALU_DEP_4)
	v_mul_f64 v[0:1], v[0:1], s[2:3]
	v_mul_f64 v[2:3], v[2:3], s[2:3]
	s_delay_alu instid0(VALU_DEP_4) | instskip(NEXT) | instid1(VALU_DEP_4)
	v_mul_f64 v[4:5], v[4:5], s[2:3]
	v_mul_f64 v[6:7], v[6:7], s[2:3]
	s_waitcnt vmcnt(4)
	v_mul_f64 v[54:55], v[121:122], v[10:11]
	v_mul_f64 v[72:73], v[121:122], v[8:9]
	scratch_load_b128 v[121:124], off, off offset:40 ; 16-byte Folded Reload
	s_waitcnt vmcnt(4) lgkmcnt(10)
	v_mul_f64 v[74:75], v[137:138], v[14:15]
	s_waitcnt vmcnt(3) lgkmcnt(3)
	v_mul_f64 v[96:97], v[147:148], v[58:59]
	v_mul_f64 v[98:99], v[147:148], v[56:57]
	scratch_load_b128 v[147:150], off, off offset:192 ; 16-byte Folded Reload
	s_waitcnt vmcnt(3)
	v_mul_f64 v[41:42], v[131:132], v[22:23]
	v_mul_f64 v[82:83], v[131:132], v[20:21]
	scratch_load_b128 v[131:134], off, off offset:112 ; 16-byte Folded Reload
	v_mul_f64 v[76:77], v[137:138], v[12:13]
	s_waitcnt vmcnt(3) lgkmcnt(2)
	v_mul_f64 v[100:101], v[143:144], v[62:63]
	v_mul_f64 v[102:103], v[143:144], v[60:61]
	v_fma_f64 v[8:9], v[119:120], v[8:9], v[54:55]
	v_fma_f64 v[10:11], v[119:120], v[10:11], -v[72:73]
	v_add_co_u32 v72, s0, v45, v43
	v_fma_f64 v[12:13], v[135:136], v[12:13], v[74:75]
	v_add_co_ci_u32_e64 v73, s0, v116, v44, s0
	v_fma_f64 v[20:21], v[129:130], v[20:21], v[41:42]
	v_fma_f64 v[22:23], v[129:130], v[22:23], -v[82:83]
	v_fma_f64 v[41:42], v[145:146], v[56:57], v[96:97]
	v_fma_f64 v[14:15], v[135:136], v[14:15], -v[76:77]
	v_fma_f64 v[43:44], v[145:146], v[58:59], -v[98:99]
	v_add_co_u32 v74, s0, v72, s4
	s_delay_alu instid0(VALU_DEP_1) | instskip(SKIP_2) | instid1(VALU_DEP_4)
	v_add_co_ci_u32_e64 v75, s0, s5, v73, s0
	v_fma_f64 v[45:46], v[141:142], v[60:61], v[100:101]
	v_fma_f64 v[47:48], v[141:142], v[62:63], -v[102:103]
	v_add_co_u32 v76, s0, v74, s6
	s_delay_alu instid0(VALU_DEP_1) | instskip(NEXT) | instid1(VALU_DEP_2)
	v_add_co_ci_u32_e64 v77, s0, s7, v75, s0
	v_add_co_u32 v61, s0, v76, s4
	s_delay_alu instid0(VALU_DEP_1) | instskip(NEXT) | instid1(VALU_DEP_2)
	v_add_co_ci_u32_e64 v62, s0, s5, v77, s0
	v_add_co_u32 v63, s0, v61, s6
	v_mul_f64 v[8:9], v[8:9], s[2:3]
	v_mul_f64 v[10:11], v[10:11], s[2:3]
	;; [unrolled: 1-line block ×6, first 2 shown]
	s_waitcnt vmcnt(2)
	v_mul_f64 v[78:79], v[123:124], v[18:19]
	v_mul_f64 v[80:81], v[123:124], v[16:17]
	scratch_load_b128 v[123:126], off, off offset:64 ; 16-byte Folded Reload
	s_waitcnt vmcnt(2) lgkmcnt(1)
	v_mul_f64 v[104:105], v[149:150], v[66:67]
	v_mul_f64 v[106:107], v[149:150], v[64:65]
	scratch_load_b128 v[149:152], off, off offset:208 ; 16-byte Folded Reload
	s_waitcnt vmcnt(2)
	v_mul_f64 v[84:85], v[133:134], v[27:28]
	v_mul_f64 v[86:87], v[133:134], v[25:26]
	v_fma_f64 v[16:17], v[121:122], v[16:17], v[78:79]
	v_fma_f64 v[18:19], v[121:122], v[18:19], -v[80:81]
	v_fma_f64 v[49:50], v[147:148], v[64:65], v[104:105]
	v_fma_f64 v[51:52], v[147:148], v[66:67], -v[106:107]
	v_add_co_ci_u32_e64 v64, s0, s7, v62, s0
	v_fma_f64 v[25:26], v[131:132], v[25:26], v[84:85]
	v_fma_f64 v[27:28], v[131:132], v[27:28], -v[86:87]
	v_add_co_u32 v65, s0, v63, s4
	s_delay_alu instid0(VALU_DEP_1) | instskip(NEXT) | instid1(VALU_DEP_2)
	v_add_co_ci_u32_e64 v66, s0, s5, v64, s0
	v_add_co_u32 v67, s0, v65, s6
	v_mul_f64 v[16:17], v[16:17], s[2:3]
	v_mul_f64 v[18:19], v[18:19], s[2:3]
	v_mul_f64 v[25:26], v[25:26], s[2:3]
	v_mul_f64 v[27:28], v[27:28], s[2:3]
	s_waitcnt vmcnt(1)
	v_mul_f64 v[88:89], v[125:126], v[35:36]
	v_mul_f64 v[90:91], v[125:126], v[33:34]
	scratch_load_b128 v[125:128], off, off offset:80 ; 16-byte Folded Reload
	s_waitcnt vmcnt(1)
	v_mul_f64 v[108:109], v[151:152], v[31:32]
	v_mul_f64 v[110:111], v[151:152], v[29:30]
	scratch_load_b128 v[151:154], off, off offset:224 ; 16-byte Folded Reload
	s_clause 0x4
	global_store_b128 v[72:73], v[0:3], off
	global_store_b128 v[74:75], v[4:7], off
	;; [unrolled: 1-line block ×6, first 2 shown]
	v_fma_f64 v[33:34], v[123:124], v[33:34], v[88:89]
	v_fma_f64 v[35:36], v[123:124], v[35:36], -v[90:91]
	v_fma_f64 v[53:54], v[149:150], v[29:30], v[108:109]
	v_fma_f64 v[55:56], v[149:150], v[31:32], -v[110:111]
	s_delay_alu instid0(VALU_DEP_4) | instskip(NEXT) | instid1(VALU_DEP_4)
	v_mul_f64 v[29:30], v[33:34], s[2:3]
	v_mul_f64 v[31:32], v[35:36], s[2:3]
	s_waitcnt vmcnt(1)
	v_mul_f64 v[92:93], v[127:128], v[39:40]
	v_mul_f64 v[94:95], v[127:128], v[37:38]
	s_waitcnt vmcnt(0) lgkmcnt(0)
	v_mul_f64 v[112:113], v[153:154], v[70:71]
	v_mul_f64 v[114:115], v[153:154], v[68:69]
	s_delay_alu instid0(VALU_DEP_4) | instskip(NEXT) | instid1(VALU_DEP_4)
	v_fma_f64 v[37:38], v[125:126], v[37:38], v[92:93]
	v_fma_f64 v[39:40], v[125:126], v[39:40], -v[94:95]
	s_delay_alu instid0(VALU_DEP_4) | instskip(NEXT) | instid1(VALU_DEP_4)
	v_fma_f64 v[57:58], v[151:152], v[68:69], v[112:113]
	v_fma_f64 v[59:60], v[151:152], v[70:71], -v[114:115]
	v_add_co_ci_u32_e64 v68, s0, s7, v66, s0
	v_add_co_u32 v0, s0, v67, s4
	s_delay_alu instid0(VALU_DEP_1) | instskip(NEXT) | instid1(VALU_DEP_2)
	v_add_co_ci_u32_e64 v1, s0, s5, v68, s0
	v_add_co_u32 v2, s0, v0, s6
	global_store_b128 v[67:68], v[25:28], off
	v_add_co_ci_u32_e64 v3, s0, s7, v1, s0
	v_add_co_u32 v4, s0, v2, s4
	global_store_b128 v[0:1], v[29:32], off
	v_add_co_ci_u32_e64 v5, s0, s5, v3, s0
	v_add_co_u32 v6, s0, v4, s6
	s_delay_alu instid0(VALU_DEP_1) | instskip(NEXT) | instid1(VALU_DEP_2)
	v_add_co_ci_u32_e64 v7, s0, s7, v5, s0
	v_add_co_u32 v8, s0, v6, s4
	s_delay_alu instid0(VALU_DEP_1) | instskip(NEXT) | instid1(VALU_DEP_2)
	v_add_co_ci_u32_e64 v9, s0, s5, v7, s0
	v_add_co_u32 v10, s0, v8, s6
	s_delay_alu instid0(VALU_DEP_1)
	v_add_co_ci_u32_e64 v11, s0, s7, v9, s0
	v_mul_f64 v[33:34], v[37:38], s[2:3]
	v_mul_f64 v[35:36], v[39:40], s[2:3]
	;; [unrolled: 1-line block ×12, first 2 shown]
	v_add_co_u32 v0, s0, v10, s4
	s_delay_alu instid0(VALU_DEP_1)
	v_add_co_ci_u32_e64 v1, s0, s5, v11, s0
	global_store_b128 v[2:3], v[33:36], off
	global_store_b128 v[4:5], v[37:40], off
	;; [unrolled: 1-line block ×6, first 2 shown]
	s_and_b32 exec_lo, exec_lo, vcc_lo
	s_cbranch_execz .LBB0_47
; %bb.46:
	scratch_load_b64 v[2:3], off, off offset:16 ; 8-byte Folded Reload
	s_waitcnt vmcnt(0)
	global_load_b128 v[2:5], v[2:3], off offset:256
	ds_load_b128 v[6:9], v24 offset:12544
	ds_load_b128 v[10:13], v24 offset:25984
	s_waitcnt vmcnt(0) lgkmcnt(1)
	v_mul_f64 v[14:15], v[8:9], v[4:5]
	v_mul_f64 v[4:5], v[6:7], v[4:5]
	s_delay_alu instid0(VALU_DEP_2) | instskip(NEXT) | instid1(VALU_DEP_2)
	v_fma_f64 v[6:7], v[6:7], v[2:3], v[14:15]
	v_fma_f64 v[4:5], v[2:3], v[8:9], -v[4:5]
	s_delay_alu instid0(VALU_DEP_2)
	v_mul_f64 v[2:3], v[6:7], s[2:3]
	v_add_co_u32 v6, vcc_lo, v0, s6
	v_add_co_ci_u32_e32 v7, vcc_lo, s7, v1, vcc_lo
	scratch_load_b64 v[0:1], off, off offset:376 ; 8-byte Folded Reload
	v_mul_f64 v[4:5], v[4:5], s[2:3]
	global_store_b128 v[6:7], v[2:5], off
	s_waitcnt vmcnt(0)
	global_load_b128 v[0:3], v[0:1], off offset:1408
	s_waitcnt vmcnt(0) lgkmcnt(0)
	v_mul_f64 v[4:5], v[12:13], v[2:3]
	v_mul_f64 v[2:3], v[10:11], v[2:3]
	s_delay_alu instid0(VALU_DEP_2) | instskip(NEXT) | instid1(VALU_DEP_2)
	v_fma_f64 v[4:5], v[10:11], v[0:1], v[4:5]
	v_fma_f64 v[2:3], v[0:1], v[12:13], -v[2:3]
	s_delay_alu instid0(VALU_DEP_2) | instskip(NEXT) | instid1(VALU_DEP_2)
	v_mul_f64 v[0:1], v[4:5], s[2:3]
	v_mul_f64 v[2:3], v[2:3], s[2:3]
	v_add_co_u32 v4, vcc_lo, v6, s4
	v_add_co_ci_u32_e32 v5, vcc_lo, s5, v7, vcc_lo
	global_store_b128 v[4:5], v[0:3], off
.LBB0_47:
	s_nop 0
	s_sendmsg sendmsg(MSG_DEALLOC_VGPRS)
	s_endpgm
	.section	.rodata,"a",@progbits
	.p2align	6, 0x0
	.amdhsa_kernel bluestein_single_fwd_len1680_dim1_dp_op_CI_CI
		.amdhsa_group_segment_fixed_size 26880
		.amdhsa_private_segment_fixed_size 388
		.amdhsa_kernarg_size 104
		.amdhsa_user_sgpr_count 15
		.amdhsa_user_sgpr_dispatch_ptr 0
		.amdhsa_user_sgpr_queue_ptr 0
		.amdhsa_user_sgpr_kernarg_segment_ptr 1
		.amdhsa_user_sgpr_dispatch_id 0
		.amdhsa_user_sgpr_private_segment_size 0
		.amdhsa_wavefront_size32 1
		.amdhsa_uses_dynamic_stack 0
		.amdhsa_enable_private_segment 1
		.amdhsa_system_sgpr_workgroup_id_x 1
		.amdhsa_system_sgpr_workgroup_id_y 0
		.amdhsa_system_sgpr_workgroup_id_z 0
		.amdhsa_system_sgpr_workgroup_info 0
		.amdhsa_system_vgpr_workitem_id 0
		.amdhsa_next_free_vgpr 256
		.amdhsa_next_free_sgpr 30
		.amdhsa_reserve_vcc 1
		.amdhsa_float_round_mode_32 0
		.amdhsa_float_round_mode_16_64 0
		.amdhsa_float_denorm_mode_32 3
		.amdhsa_float_denorm_mode_16_64 3
		.amdhsa_dx10_clamp 1
		.amdhsa_ieee_mode 1
		.amdhsa_fp16_overflow 0
		.amdhsa_workgroup_processor_mode 1
		.amdhsa_memory_ordered 1
		.amdhsa_forward_progress 0
		.amdhsa_shared_vgpr_count 0
		.amdhsa_exception_fp_ieee_invalid_op 0
		.amdhsa_exception_fp_denorm_src 0
		.amdhsa_exception_fp_ieee_div_zero 0
		.amdhsa_exception_fp_ieee_overflow 0
		.amdhsa_exception_fp_ieee_underflow 0
		.amdhsa_exception_fp_ieee_inexact 0
		.amdhsa_exception_int_div_zero 0
	.end_amdhsa_kernel
	.text
.Lfunc_end0:
	.size	bluestein_single_fwd_len1680_dim1_dp_op_CI_CI, .Lfunc_end0-bluestein_single_fwd_len1680_dim1_dp_op_CI_CI
                                        ; -- End function
	.section	.AMDGPU.csdata,"",@progbits
; Kernel info:
; codeLenInByte = 26800
; NumSgprs: 32
; NumVgprs: 256
; ScratchSize: 388
; MemoryBound: 0
; FloatMode: 240
; IeeeMode: 1
; LDSByteSize: 26880 bytes/workgroup (compile time only)
; SGPRBlocks: 3
; VGPRBlocks: 31
; NumSGPRsForWavesPerEU: 32
; NumVGPRsForWavesPerEU: 256
; Occupancy: 4
; WaveLimiterHint : 1
; COMPUTE_PGM_RSRC2:SCRATCH_EN: 1
; COMPUTE_PGM_RSRC2:USER_SGPR: 15
; COMPUTE_PGM_RSRC2:TRAP_HANDLER: 0
; COMPUTE_PGM_RSRC2:TGID_X_EN: 1
; COMPUTE_PGM_RSRC2:TGID_Y_EN: 0
; COMPUTE_PGM_RSRC2:TGID_Z_EN: 0
; COMPUTE_PGM_RSRC2:TIDIG_COMP_CNT: 0
	.text
	.p2alignl 7, 3214868480
	.fill 96, 4, 3214868480
	.type	__hip_cuid_138ccf812e39e0f4,@object ; @__hip_cuid_138ccf812e39e0f4
	.section	.bss,"aw",@nobits
	.globl	__hip_cuid_138ccf812e39e0f4
__hip_cuid_138ccf812e39e0f4:
	.byte	0                               ; 0x0
	.size	__hip_cuid_138ccf812e39e0f4, 1

	.ident	"AMD clang version 19.0.0git (https://github.com/RadeonOpenCompute/llvm-project roc-6.4.0 25133 c7fe45cf4b819c5991fe208aaa96edf142730f1d)"
	.section	".note.GNU-stack","",@progbits
	.addrsig
	.addrsig_sym __hip_cuid_138ccf812e39e0f4
	.amdgpu_metadata
---
amdhsa.kernels:
  - .args:
      - .actual_access:  read_only
        .address_space:  global
        .offset:         0
        .size:           8
        .value_kind:     global_buffer
      - .actual_access:  read_only
        .address_space:  global
        .offset:         8
        .size:           8
        .value_kind:     global_buffer
      - .actual_access:  read_only
        .address_space:  global
        .offset:         16
        .size:           8
        .value_kind:     global_buffer
      - .actual_access:  read_only
        .address_space:  global
        .offset:         24
        .size:           8
        .value_kind:     global_buffer
      - .actual_access:  read_only
        .address_space:  global
        .offset:         32
        .size:           8
        .value_kind:     global_buffer
      - .offset:         40
        .size:           8
        .value_kind:     by_value
      - .address_space:  global
        .offset:         48
        .size:           8
        .value_kind:     global_buffer
      - .address_space:  global
        .offset:         56
        .size:           8
        .value_kind:     global_buffer
      - .address_space:  global
        .offset:         64
        .size:           8
        .value_kind:     global_buffer
      - .address_space:  global
        .offset:         72
        .size:           8
        .value_kind:     global_buffer
      - .offset:         80
        .size:           4
        .value_kind:     by_value
      - .address_space:  global
        .offset:         88
        .size:           8
        .value_kind:     global_buffer
      - .address_space:  global
        .offset:         96
        .size:           8
        .value_kind:     global_buffer
    .group_segment_fixed_size: 26880
    .kernarg_segment_align: 8
    .kernarg_segment_size: 104
    .language:       OpenCL C
    .language_version:
      - 2
      - 0
    .max_flat_workgroup_size: 112
    .name:           bluestein_single_fwd_len1680_dim1_dp_op_CI_CI
    .private_segment_fixed_size: 388
    .sgpr_count:     32
    .sgpr_spill_count: 0
    .symbol:         bluestein_single_fwd_len1680_dim1_dp_op_CI_CI.kd
    .uniform_work_group_size: 1
    .uses_dynamic_stack: false
    .vgpr_count:     256
    .vgpr_spill_count: 96
    .wavefront_size: 32
    .workgroup_processor_mode: 1
amdhsa.target:   amdgcn-amd-amdhsa--gfx1100
amdhsa.version:
  - 1
  - 2
...

	.end_amdgpu_metadata
